;; amdgpu-corpus repo=ROCm/rocFFT kind=compiled arch=gfx1030 opt=O3
	.text
	.amdgcn_target "amdgcn-amd-amdhsa--gfx1030"
	.amdhsa_code_object_version 6
	.protected	fft_rtc_back_len476_factors_17_2_7_2_wgs_102_tpt_34_halfLds_dp_ip_CI_unitstride_sbrr_C2R_dirReg ; -- Begin function fft_rtc_back_len476_factors_17_2_7_2_wgs_102_tpt_34_halfLds_dp_ip_CI_unitstride_sbrr_C2R_dirReg
	.globl	fft_rtc_back_len476_factors_17_2_7_2_wgs_102_tpt_34_halfLds_dp_ip_CI_unitstride_sbrr_C2R_dirReg
	.p2align	8
	.type	fft_rtc_back_len476_factors_17_2_7_2_wgs_102_tpt_34_halfLds_dp_ip_CI_unitstride_sbrr_C2R_dirReg,@function
fft_rtc_back_len476_factors_17_2_7_2_wgs_102_tpt_34_halfLds_dp_ip_CI_unitstride_sbrr_C2R_dirReg: ; @fft_rtc_back_len476_factors_17_2_7_2_wgs_102_tpt_34_halfLds_dp_ip_CI_unitstride_sbrr_C2R_dirReg
; %bb.0:
	s_load_dwordx4 s[8:11], s[4:5], 0x0
	v_mul_u32_u24_e32 v1, 0x788, v0
	s_clause 0x1
	s_load_dwordx2 s[2:3], s[4:5], 0x50
	s_load_dwordx2 s[12:13], s[4:5], 0x18
	v_mov_b32_e32 v5, 0
	v_mov_b32_e32 v3, 0
	;; [unrolled: 1-line block ×3, first 2 shown]
	v_lshrrev_b32_e32 v1, 16, v1
	v_mad_u64_u32 v[1:2], null, s6, 3, v[1:2]
	v_mov_b32_e32 v2, v5
	v_mov_b32_e32 v10, v2
	;; [unrolled: 1-line block ×3, first 2 shown]
	s_waitcnt lgkmcnt(0)
	v_cmp_lt_u64_e64 s0, s[10:11], 2
	s_and_b32 vcc_lo, exec_lo, s0
	s_cbranch_vccnz .LBB0_8
; %bb.1:
	s_load_dwordx2 s[0:1], s[4:5], 0x10
	v_mov_b32_e32 v3, 0
	v_mov_b32_e32 v8, v2
	s_add_u32 s6, s12, 8
	v_mov_b32_e32 v4, 0
	v_mov_b32_e32 v7, v1
	s_addc_u32 s7, s13, 0
	s_mov_b64 s[16:17], 1
	s_waitcnt lgkmcnt(0)
	s_add_u32 s14, s0, 8
	s_addc_u32 s15, s1, 0
.LBB0_2:                                ; =>This Inner Loop Header: Depth=1
	s_load_dwordx2 s[18:19], s[14:15], 0x0
                                        ; implicit-def: $vgpr9_vgpr10
	s_mov_b32 s0, exec_lo
	s_waitcnt lgkmcnt(0)
	v_or_b32_e32 v6, s19, v8
	v_cmpx_ne_u64_e32 0, v[5:6]
	s_xor_b32 s1, exec_lo, s0
	s_cbranch_execz .LBB0_4
; %bb.3:                                ;   in Loop: Header=BB0_2 Depth=1
	v_cvt_f32_u32_e32 v2, s18
	v_cvt_f32_u32_e32 v6, s19
	s_sub_u32 s0, 0, s18
	s_subb_u32 s20, 0, s19
	v_fmac_f32_e32 v2, 0x4f800000, v6
	v_rcp_f32_e32 v2, v2
	v_mul_f32_e32 v2, 0x5f7ffffc, v2
	v_mul_f32_e32 v6, 0x2f800000, v2
	v_trunc_f32_e32 v6, v6
	v_fmac_f32_e32 v2, 0xcf800000, v6
	v_cvt_u32_f32_e32 v6, v6
	v_cvt_u32_f32_e32 v2, v2
	v_mul_lo_u32 v9, s0, v6
	v_mul_hi_u32 v10, s0, v2
	v_mul_lo_u32 v11, s20, v2
	v_add_nc_u32_e32 v9, v10, v9
	v_mul_lo_u32 v10, s0, v2
	v_add_nc_u32_e32 v9, v9, v11
	v_mul_hi_u32 v11, v2, v10
	v_mul_lo_u32 v12, v2, v9
	v_mul_hi_u32 v13, v2, v9
	v_mul_hi_u32 v14, v6, v10
	v_mul_lo_u32 v10, v6, v10
	v_mul_hi_u32 v15, v6, v9
	v_mul_lo_u32 v9, v6, v9
	v_add_co_u32 v11, vcc_lo, v11, v12
	v_add_co_ci_u32_e32 v12, vcc_lo, 0, v13, vcc_lo
	v_add_co_u32 v10, vcc_lo, v11, v10
	v_add_co_ci_u32_e32 v10, vcc_lo, v12, v14, vcc_lo
	v_add_co_ci_u32_e32 v11, vcc_lo, 0, v15, vcc_lo
	v_add_co_u32 v9, vcc_lo, v10, v9
	v_add_co_ci_u32_e32 v10, vcc_lo, 0, v11, vcc_lo
	v_add_co_u32 v2, vcc_lo, v2, v9
	v_add_co_ci_u32_e32 v6, vcc_lo, v6, v10, vcc_lo
	v_mul_hi_u32 v9, s0, v2
	v_mul_lo_u32 v11, s20, v2
	v_mul_lo_u32 v10, s0, v6
	v_add_nc_u32_e32 v9, v9, v10
	v_mul_lo_u32 v10, s0, v2
	v_add_nc_u32_e32 v9, v9, v11
	v_mul_hi_u32 v11, v2, v10
	v_mul_lo_u32 v12, v2, v9
	v_mul_hi_u32 v13, v2, v9
	v_mul_hi_u32 v14, v6, v10
	v_mul_lo_u32 v10, v6, v10
	v_mul_hi_u32 v15, v6, v9
	v_mul_lo_u32 v9, v6, v9
	v_add_co_u32 v11, vcc_lo, v11, v12
	v_add_co_ci_u32_e32 v12, vcc_lo, 0, v13, vcc_lo
	v_add_co_u32 v10, vcc_lo, v11, v10
	v_add_co_ci_u32_e32 v10, vcc_lo, v12, v14, vcc_lo
	v_add_co_ci_u32_e32 v11, vcc_lo, 0, v15, vcc_lo
	v_add_co_u32 v9, vcc_lo, v10, v9
	v_add_co_ci_u32_e32 v10, vcc_lo, 0, v11, vcc_lo
	v_add_co_u32 v2, vcc_lo, v2, v9
	v_add_co_ci_u32_e32 v6, vcc_lo, v6, v10, vcc_lo
	v_mul_hi_u32 v15, v7, v2
	v_mad_u64_u32 v[11:12], null, v8, v2, 0
	v_mad_u64_u32 v[9:10], null, v7, v6, 0
	v_mad_u64_u32 v[13:14], null, v8, v6, 0
	v_add_co_u32 v2, vcc_lo, v15, v9
	v_add_co_ci_u32_e32 v6, vcc_lo, 0, v10, vcc_lo
	v_add_co_u32 v2, vcc_lo, v2, v11
	v_add_co_ci_u32_e32 v2, vcc_lo, v6, v12, vcc_lo
	v_add_co_ci_u32_e32 v6, vcc_lo, 0, v14, vcc_lo
	v_add_co_u32 v2, vcc_lo, v2, v13
	v_add_co_ci_u32_e32 v6, vcc_lo, 0, v6, vcc_lo
	v_mul_lo_u32 v11, s19, v2
	v_mad_u64_u32 v[9:10], null, s18, v2, 0
	v_mul_lo_u32 v12, s18, v6
	v_sub_co_u32 v9, vcc_lo, v7, v9
	v_add3_u32 v10, v10, v12, v11
	v_sub_nc_u32_e32 v11, v8, v10
	v_subrev_co_ci_u32_e64 v11, s0, s19, v11, vcc_lo
	v_add_co_u32 v12, s0, v2, 2
	v_add_co_ci_u32_e64 v13, s0, 0, v6, s0
	v_sub_co_u32 v14, s0, v9, s18
	v_sub_co_ci_u32_e32 v10, vcc_lo, v8, v10, vcc_lo
	v_subrev_co_ci_u32_e64 v11, s0, 0, v11, s0
	v_cmp_le_u32_e32 vcc_lo, s18, v14
	v_cmp_eq_u32_e64 s0, s19, v10
	v_cndmask_b32_e64 v14, 0, -1, vcc_lo
	v_cmp_le_u32_e32 vcc_lo, s19, v11
	v_cndmask_b32_e64 v15, 0, -1, vcc_lo
	v_cmp_le_u32_e32 vcc_lo, s18, v9
	;; [unrolled: 2-line block ×3, first 2 shown]
	v_cndmask_b32_e64 v16, 0, -1, vcc_lo
	v_cmp_eq_u32_e32 vcc_lo, s19, v11
	v_cndmask_b32_e64 v9, v16, v9, s0
	v_cndmask_b32_e32 v11, v15, v14, vcc_lo
	v_add_co_u32 v14, vcc_lo, v2, 1
	v_add_co_ci_u32_e32 v15, vcc_lo, 0, v6, vcc_lo
	v_cmp_ne_u32_e32 vcc_lo, 0, v11
	v_cndmask_b32_e32 v10, v15, v13, vcc_lo
	v_cndmask_b32_e32 v11, v14, v12, vcc_lo
	v_cmp_ne_u32_e32 vcc_lo, 0, v9
	v_cndmask_b32_e32 v10, v6, v10, vcc_lo
	v_cndmask_b32_e32 v9, v2, v11, vcc_lo
.LBB0_4:                                ;   in Loop: Header=BB0_2 Depth=1
	s_andn2_saveexec_b32 s0, s1
	s_cbranch_execz .LBB0_6
; %bb.5:                                ;   in Loop: Header=BB0_2 Depth=1
	v_cvt_f32_u32_e32 v2, s18
	s_sub_i32 s1, 0, s18
	v_rcp_iflag_f32_e32 v2, v2
	v_mul_f32_e32 v2, 0x4f7ffffe, v2
	v_cvt_u32_f32_e32 v2, v2
	v_mul_lo_u32 v6, s1, v2
	v_mul_hi_u32 v6, v2, v6
	v_add_nc_u32_e32 v2, v2, v6
	v_mul_hi_u32 v2, v7, v2
	v_mul_lo_u32 v6, v2, s18
	v_add_nc_u32_e32 v9, 1, v2
	v_sub_nc_u32_e32 v6, v7, v6
	v_subrev_nc_u32_e32 v10, s18, v6
	v_cmp_le_u32_e32 vcc_lo, s18, v6
	v_cndmask_b32_e32 v6, v6, v10, vcc_lo
	v_cndmask_b32_e32 v2, v2, v9, vcc_lo
	v_mov_b32_e32 v10, v5
	v_cmp_le_u32_e32 vcc_lo, s18, v6
	v_add_nc_u32_e32 v9, 1, v2
	v_cndmask_b32_e32 v9, v2, v9, vcc_lo
.LBB0_6:                                ;   in Loop: Header=BB0_2 Depth=1
	s_or_b32 exec_lo, exec_lo, s0
	s_load_dwordx2 s[0:1], s[6:7], 0x0
	v_mul_lo_u32 v2, v10, s18
	v_mul_lo_u32 v6, v9, s19
	v_mad_u64_u32 v[11:12], null, v9, s18, 0
	s_add_u32 s16, s16, 1
	s_addc_u32 s17, s17, 0
	s_add_u32 s6, s6, 8
	s_addc_u32 s7, s7, 0
	;; [unrolled: 2-line block ×3, first 2 shown]
	v_add3_u32 v2, v12, v6, v2
	v_sub_co_u32 v6, vcc_lo, v7, v11
	v_sub_co_ci_u32_e32 v2, vcc_lo, v8, v2, vcc_lo
	s_waitcnt lgkmcnt(0)
	v_mul_lo_u32 v7, s1, v6
	v_mul_lo_u32 v2, s0, v2
	v_mad_u64_u32 v[3:4], null, s0, v6, v[3:4]
	v_cmp_ge_u64_e64 s0, s[16:17], s[10:11]
	s_and_b32 vcc_lo, exec_lo, s0
	v_add3_u32 v4, v7, v4, v2
	s_cbranch_vccnz .LBB0_8
; %bb.7:                                ;   in Loop: Header=BB0_2 Depth=1
	v_mov_b32_e32 v7, v9
	v_mov_b32_e32 v8, v10
	s_branch .LBB0_2
.LBB0_8:
	s_lshl_b64 s[0:1], s[10:11], 3
	v_mul_hi_u32 v2, 0xaaaaaaab, v1
	s_add_u32 s0, s12, s0
	s_addc_u32 s1, s13, s1
	s_load_dwordx2 s[4:5], s[4:5], 0x20
	s_load_dwordx2 s[0:1], s[0:1], 0x0
	v_mul_hi_u32 v5, 0x7878788, v0
	v_lshrrev_b32_e32 v2, 1, v2
	v_lshl_add_u32 v6, v2, 1, v2
	v_sub_nc_u32_e32 v1, v1, v6
	s_waitcnt lgkmcnt(0)
	v_cmp_gt_u64_e32 vcc_lo, s[4:5], v[9:10]
	v_mul_lo_u32 v7, s0, v10
	v_mul_lo_u32 v8, s1, v9
	v_mad_u64_u32 v[2:3], null, s0, v9, v[3:4]
	v_mul_u32_u24_e32 v4, 34, v5
	v_mul_u32_u24_e32 v11, 0x1dd, v1
	v_mov_b32_e32 v5, 0
	v_sub_nc_u32_e32 v4, v0, v4
	v_add3_u32 v3, v8, v3, v7
	v_lshlrev_b32_e32 v136, 4, v11
	v_mov_b32_e32 v68, v4
	v_lshlrev_b64 v[70:71], 4, v[2:3]
	s_and_saveexec_b32 s1, vcc_lo
	s_cbranch_execz .LBB0_12
; %bb.9:
	v_lshlrev_b64 v[0:1], 4, v[4:5]
	v_add_co_u32 v2, s0, s2, v70
	v_add_co_ci_u32_e64 v3, s0, s3, v71, s0
	s_mov_b32 s4, exec_lo
	v_add_co_u32 v0, s0, v2, v0
	v_add_co_ci_u32_e64 v1, s0, v3, v1, s0
	s_clause 0x3
	global_load_dwordx4 v[7:10], v[0:1], off
	global_load_dwordx4 v[12:15], v[0:1], off offset:544
	global_load_dwordx4 v[16:19], v[0:1], off offset:1088
	;; [unrolled: 1-line block ×3, first 2 shown]
	v_add_co_u32 v36, s0, 0x800, v0
	v_add_co_ci_u32_e64 v37, s0, 0, v1, s0
	v_add_co_u32 v52, s0, 0x1000, v0
	v_add_co_ci_u32_e64 v53, s0, 0, v1, s0
	v_add_co_u32 v0, s0, 0x1800, v0
	v_add_co_ci_u32_e64 v1, s0, 0, v1, s0
	s_clause 0x9
	global_load_dwordx4 v[24:27], v[36:37], off offset:128
	global_load_dwordx4 v[28:31], v[36:37], off offset:672
	;; [unrolled: 1-line block ×10, first 2 shown]
	v_lshlrev_b32_e32 v0, 4, v4
	v_add3_u32 v6, 0, v136, v0
	v_mov_b32_e32 v0, v4
	v_mov_b32_e32 v1, v5
	s_waitcnt vmcnt(13)
	ds_write_b128 v6, v[7:10]
	s_waitcnt vmcnt(12)
	ds_write_b128 v6, v[12:15] offset:544
	s_waitcnt vmcnt(11)
	ds_write_b128 v6, v[16:19] offset:1088
	;; [unrolled: 2-line block ×13, first 2 shown]
	v_cmpx_eq_u32_e32 33, v4
	s_cbranch_execz .LBB0_11
; %bb.10:
	v_add_co_u32 v0, s0, 0x1800, v2
	v_add_co_ci_u32_e64 v1, s0, 0, v3, s0
	v_mov_b32_e32 v4, 33
	global_load_dwordx4 v[7:10], v[0:1], off offset:1472
	v_mov_b32_e32 v0, 33
	v_mov_b32_e32 v1, 0
	s_waitcnt vmcnt(0)
	ds_write_b128 v6, v[7:10] offset:7088
.LBB0_11:
	s_or_b32 exec_lo, exec_lo, s4
	v_mov_b32_e32 v68, v4
	v_mov_b32_e32 v5, v1
	;; [unrolled: 1-line block ×3, first 2 shown]
.LBB0_12:
	s_or_b32 exec_lo, exec_lo, s1
	v_lshl_add_u32 v137, v11, 4, 0
	v_lshlrev_b32_e32 v0, 4, v68
	s_waitcnt lgkmcnt(0)
	s_barrier
	buffer_gl0_inv
	v_lshlrev_b64 v[72:73], 4, v[4:5]
	v_add_nc_u32_e32 v138, v137, v0
	v_sub_nc_u32_e32 v10, v137, v0
	s_add_u32 s1, s8, 0x1cb0
	s_addc_u32 s4, s9, 0
	ds_read_b64 v[6:7], v138
	ds_read_b64 v[8:9], v10 offset:7616
	s_mov_b32 s5, exec_lo
	s_waitcnt lgkmcnt(0)
	v_add_f64 v[0:1], v[6:7], v[8:9]
	v_add_f64 v[2:3], v[6:7], -v[8:9]
	v_cmpx_ne_u32_e32 0, v68
	s_xor_b32 s5, exec_lo, s5
	s_cbranch_execz .LBB0_14
; %bb.13:
	v_add_co_u32 v0, s0, s1, v72
	v_add_co_ci_u32_e64 v1, s0, s4, v73, s0
	v_add_f64 v[14:15], v[6:7], v[8:9]
	v_add_f64 v[8:9], v[6:7], -v[8:9]
	global_load_dwordx4 v[2:5], v[0:1], off
	ds_read_b64 v[0:1], v10 offset:7624
	ds_read_b64 v[12:13], v138 offset:8
	s_waitcnt lgkmcnt(0)
	v_add_f64 v[6:7], v[0:1], v[12:13]
	v_add_f64 v[0:1], v[12:13], -v[0:1]
	s_waitcnt vmcnt(0)
	v_fma_f64 v[12:13], v[8:9], v[4:5], v[14:15]
	v_fma_f64 v[14:15], -v[8:9], v[4:5], v[14:15]
	v_fma_f64 v[16:17], v[6:7], v[4:5], -v[0:1]
	v_fma_f64 v[18:19], v[6:7], v[4:5], v[0:1]
	v_fma_f64 v[0:1], -v[6:7], v[2:3], v[12:13]
	v_fma_f64 v[4:5], v[6:7], v[2:3], v[14:15]
	v_fma_f64 v[6:7], v[8:9], v[2:3], v[16:17]
	;; [unrolled: 1-line block ×3, first 2 shown]
	ds_write_b128 v10, v[4:7] offset:7616
.LBB0_14:
	s_andn2_saveexec_b32 s0, s5
	s_cbranch_execz .LBB0_16
; %bb.15:
	ds_read_b128 v[4:7], v137 offset:3808
	s_waitcnt lgkmcnt(0)
	v_add_f64 v[4:5], v[4:5], v[4:5]
	v_mul_f64 v[6:7], v[6:7], -2.0
	ds_write_b128 v137, v[4:7] offset:3808
.LBB0_16:
	s_or_b32 exec_lo, exec_lo, s0
	v_mov_b32_e32 v69, 0
	v_lshl_add_u32 v140, v68, 4, 0
	s_mov_b32 s33, exec_lo
	v_lshlrev_b64 v[74:75], 4, v[68:69]
	v_lshl_add_u32 v139, v11, 4, v140
	v_add_co_u32 v8, s0, s1, v74
	v_add_co_ci_u32_e64 v9, s0, s4, v75, s0
	s_clause 0x2
	global_load_dwordx4 v[4:7], v[8:9], off offset:544
	global_load_dwordx4 v[12:15], v[8:9], off offset:1088
	;; [unrolled: 1-line block ×3, first 2 shown]
	v_add_co_u32 v28, s0, 0x800, v8
	v_add_co_ci_u32_e64 v29, s0, 0, v9, s0
	ds_write_b128 v138, v[0:3]
	ds_read_b128 v[0:3], v138 offset:544
	ds_read_b128 v[20:23], v10 offset:7072
	global_load_dwordx4 v[24:27], v[28:29], off offset:128
	s_waitcnt lgkmcnt(0)
	v_add_f64 v[8:9], v[0:1], v[20:21]
	v_add_f64 v[30:31], v[22:23], v[2:3]
	v_add_f64 v[20:21], v[0:1], -v[20:21]
	v_add_f64 v[0:1], v[2:3], -v[22:23]
	s_waitcnt vmcnt(3)
	v_fma_f64 v[2:3], v[20:21], v[6:7], v[8:9]
	v_fma_f64 v[22:23], v[30:31], v[6:7], v[0:1]
	v_fma_f64 v[8:9], -v[20:21], v[6:7], v[8:9]
	v_fma_f64 v[32:33], v[30:31], v[6:7], -v[0:1]
	v_fma_f64 v[0:1], -v[30:31], v[4:5], v[2:3]
	v_fma_f64 v[2:3], v[20:21], v[4:5], v[22:23]
	v_fma_f64 v[6:7], v[30:31], v[4:5], v[8:9]
	v_fma_f64 v[8:9], v[20:21], v[4:5], v[32:33]
	ds_write_b128 v138, v[0:3] offset:544
	ds_write_b128 v10, v[6:9] offset:7072
	ds_read_b128 v[0:3], v138 offset:1088
	ds_read_b128 v[4:7], v10 offset:6528
	global_load_dwordx4 v[20:23], v[28:29], off offset:672
	s_waitcnt lgkmcnt(0)
	v_add_f64 v[8:9], v[0:1], v[4:5]
	v_add_f64 v[30:31], v[6:7], v[2:3]
	v_add_f64 v[32:33], v[0:1], -v[4:5]
	v_add_f64 v[0:1], v[2:3], -v[6:7]
	s_waitcnt vmcnt(3)
	v_fma_f64 v[2:3], v[32:33], v[14:15], v[8:9]
	v_fma_f64 v[4:5], v[30:31], v[14:15], v[0:1]
	v_fma_f64 v[6:7], -v[32:33], v[14:15], v[8:9]
	v_fma_f64 v[8:9], v[30:31], v[14:15], -v[0:1]
	v_fma_f64 v[0:1], -v[30:31], v[12:13], v[2:3]
	v_fma_f64 v[2:3], v[32:33], v[12:13], v[4:5]
	v_fma_f64 v[4:5], v[30:31], v[12:13], v[6:7]
	v_fma_f64 v[6:7], v[32:33], v[12:13], v[8:9]
	ds_write_b128 v138, v[0:3] offset:1088
	ds_write_b128 v10, v[4:7] offset:6528
	;; [unrolled: 19-line block ×3, first 2 shown]
	ds_read_b128 v[0:3], v138 offset:2176
	ds_read_b128 v[4:7], v10 offset:5440
	s_waitcnt lgkmcnt(0)
	v_add_f64 v[8:9], v[0:1], v[4:5]
	v_add_f64 v[16:17], v[6:7], v[2:3]
	v_add_f64 v[18:19], v[0:1], -v[4:5]
	v_add_f64 v[0:1], v[2:3], -v[6:7]
	s_waitcnt vmcnt(2)
	v_fma_f64 v[2:3], v[18:19], v[26:27], v[8:9]
	v_fma_f64 v[4:5], v[16:17], v[26:27], v[0:1]
	v_fma_f64 v[6:7], -v[18:19], v[26:27], v[8:9]
	v_fma_f64 v[8:9], v[16:17], v[26:27], -v[0:1]
	v_fma_f64 v[0:1], -v[16:17], v[24:25], v[2:3]
	v_fma_f64 v[2:3], v[18:19], v[24:25], v[4:5]
	v_fma_f64 v[4:5], v[16:17], v[24:25], v[6:7]
	v_fma_f64 v[6:7], v[18:19], v[24:25], v[8:9]
	ds_write_b128 v138, v[0:3] offset:2176
	ds_write_b128 v10, v[4:7] offset:5440
	ds_read_b128 v[0:3], v138 offset:2720
	ds_read_b128 v[4:7], v10 offset:4896
	s_waitcnt lgkmcnt(0)
	v_add_f64 v[8:9], v[0:1], v[4:5]
	v_add_f64 v[16:17], v[6:7], v[2:3]
	v_add_f64 v[18:19], v[0:1], -v[4:5]
	v_add_f64 v[0:1], v[2:3], -v[6:7]
	s_waitcnt vmcnt(1)
	v_fma_f64 v[2:3], v[18:19], v[22:23], v[8:9]
	v_fma_f64 v[4:5], v[16:17], v[22:23], v[0:1]
	v_fma_f64 v[6:7], -v[18:19], v[22:23], v[8:9]
	v_fma_f64 v[8:9], v[16:17], v[22:23], -v[0:1]
	v_fma_f64 v[0:1], -v[16:17], v[20:21], v[2:3]
	v_fma_f64 v[2:3], v[18:19], v[20:21], v[4:5]
	v_fma_f64 v[4:5], v[16:17], v[20:21], v[6:7]
	v_fma_f64 v[6:7], v[18:19], v[20:21], v[8:9]
	ds_write_b128 v138, v[0:3] offset:2720
	ds_write_b128 v10, v[4:7] offset:4896
	;; [unrolled: 18-line block ×3, first 2 shown]
	s_waitcnt lgkmcnt(0)
	s_barrier
	buffer_gl0_inv
	s_barrier
	buffer_gl0_inv
	ds_read_b128 v[0:3], v138
	ds_read_b128 v[4:7], v139 offset:448
	ds_read_b128 v[16:19], v139 offset:896
	;; [unrolled: 1-line block ×16, first 2 shown]
	s_waitcnt lgkmcnt(0)
	s_barrier
	buffer_gl0_inv
	v_cmpx_gt_u32_e32 28, v68
	s_cbranch_execz .LBB0_18
; %bb.17:
	v_add_f64 v[78:79], v[0:1], v[4:5]
	v_add_f64 v[76:77], v[2:3], v[6:7]
	v_add_f64 v[88:89], v[64:65], -v[60:61]
	v_add_f64 v[102:103], v[52:53], -v[56:57]
	v_add_f64 v[86:87], v[46:47], v[50:51]
	v_add_f64 v[98:99], v[46:47], -v[50:51]
	v_add_f64 v[108:109], v[44:45], -v[48:49]
	v_add_f64 v[84:85], v[44:45], v[48:49]
	v_add_f64 v[92:93], v[38:39], v[42:43]
	v_add_f64 v[106:107], v[38:39], -v[42:43]
	v_add_f64 v[112:113], v[36:37], -v[40:41]
	v_add_f64 v[90:91], v[36:37], v[40:41]
	;; [unrolled: 4-line block ×3, first 2 shown]
	v_add_f64 v[122:123], v[24:25], -v[20:21]
	v_add_f64 v[100:101], v[24:25], v[20:21]
	v_add_f64 v[104:105], v[26:27], v[22:23]
	v_add_f64 v[118:119], v[26:27], -v[22:23]
	v_add_f64 v[126:127], v[16:17], -v[12:13]
	v_add_f64 v[116:117], v[16:17], v[12:13]
	v_add_f64 v[78:79], v[78:79], v[16:17]
	;; [unrolled: 1-line block ×3, first 2 shown]
	v_add_f64 v[132:133], v[4:5], -v[8:9]
	s_mov_b32 s6, 0xacd6c6b4
	s_mov_b32 s7, 0xbfc7851a
	v_add_f64 v[114:115], v[18:19], v[14:15]
	v_add_f64 v[124:125], v[18:19], -v[14:15]
	v_add_f64 v[130:131], v[6:7], v[10:11]
	v_add_f64 v[128:129], v[4:5], v[8:9]
	s_mov_b32 s28, 0x5d8e7cdc
	s_mov_b32 s0, 0x7faef3
	;; [unrolled: 1-line block ×4, first 2 shown]
	v_add_f64 v[134:135], v[6:7], -v[10:11]
	s_mov_b32 s22, 0x370991
	s_mov_b32 s23, 0x3fedd6d0
	;; [unrolled: 1-line block ×8, first 2 shown]
	v_add_f64 v[78:79], v[78:79], v[24:25]
	v_add_f64 v[76:77], v[76:77], v[26:27]
	s_mov_b32 s12, 0x75d4884
	s_mov_b32 s13, 0x3fe7a5f6
	;; [unrolled: 1-line block ×4, first 2 shown]
	v_mul_f64 v[18:19], v[124:125], s[28:29]
	s_mov_b32 s10, 0x6ed5f1bb
	s_mov_b32 s11, 0xbfe348c8
	;; [unrolled: 1-line block ×6, first 2 shown]
	v_mul_f64 v[16:17], v[134:135], s[6:7]
	s_mov_b32 s26, 0x923c349f
	s_mov_b32 s27, 0xbfeec746
	;; [unrolled: 1-line block ×8, first 2 shown]
	v_add_f64 v[78:79], v[78:79], v[28:29]
	v_add_f64 v[76:77], v[76:77], v[30:31]
	s_mov_b32 s31, 0xbfefdd0d
	s_mov_b32 s30, s50
	;; [unrolled: 1-line block ×14, first 2 shown]
	v_mul_f64 v[143:144], v[88:89], s[20:21]
	v_mul_f64 v[151:152], v[88:89], s[38:39]
	;; [unrolled: 1-line block ×4, first 2 shown]
	v_add_f64 v[78:79], v[78:79], v[36:37]
	v_add_f64 v[76:77], v[76:77], v[38:39]
	;; [unrolled: 1-line block ×10, first 2 shown]
	v_add_f64 v[64:65], v[66:67], -v[62:63]
	v_add_f64 v[66:67], v[54:55], -v[58:59]
	v_add_f64 v[60:61], v[82:83], v[60:61]
	v_add_f64 v[62:63], v[80:81], v[62:63]
	;; [unrolled: 1-line block ×4, first 2 shown]
	v_mul_f64 v[145:146], v[64:65], s[20:21]
	v_mul_f64 v[153:154], v[64:65], s[38:39]
	;; [unrolled: 1-line block ×4, first 2 shown]
	v_add_f64 v[54:55], v[60:61], v[56:57]
	v_add_f64 v[52:53], v[62:63], v[58:59]
	v_mul_f64 v[58:59], v[88:89], s[34:35]
	v_mul_f64 v[60:61], v[64:65], s[34:35]
	v_add_f64 v[46:47], v[54:55], v[48:49]
	v_add_f64 v[44:45], v[52:53], v[50:51]
	v_mul_f64 v[50:51], v[88:89], s[26:27]
	v_mul_f64 v[52:53], v[64:65], s[26:27]
	;; [unrolled: 4-line block ×3, first 2 shown]
	v_mul_f64 v[88:89], v[88:89], s[6:7]
	v_add_f64 v[30:31], v[38:39], v[32:33]
	v_add_f64 v[28:29], v[36:37], v[34:35]
	;; [unrolled: 1-line block ×6, first 2 shown]
	v_fma_f64 v[20:21], v[116:117], s[22:23], -v[18:19]
	v_add_f64 v[4:5], v[12:13], v[8:9]
	v_mul_f64 v[12:13], v[132:133], s[6:7]
	v_add_f64 v[6:7], v[14:15], v[10:11]
	v_mul_f64 v[14:15], v[126:127], s[28:29]
	v_fma_f64 v[8:9], v[130:131], s[0:1], v[12:13]
	v_fma_f64 v[12:13], v[130:131], s[0:1], -v[12:13]
	v_fma_f64 v[10:11], v[114:115], s[22:23], v[14:15]
	v_fma_f64 v[14:15], v[114:115], s[22:23], -v[14:15]
	v_add_f64 v[8:9], v[2:3], v[8:9]
	v_add_f64 v[12:13], v[2:3], v[12:13]
	;; [unrolled: 1-line block ×3, first 2 shown]
	v_fma_f64 v[10:11], v[128:129], s[0:1], -v[16:17]
	v_add_f64 v[12:13], v[14:15], v[12:13]
	v_fma_f64 v[14:15], v[128:129], s[0:1], v[16:17]
	v_fma_f64 v[16:17], v[116:117], s[22:23], v[18:19]
	;; [unrolled: 1-line block ×3, first 2 shown]
	v_add_f64 v[10:11], v[0:1], v[10:11]
	v_add_f64 v[14:15], v[0:1], v[14:15]
	;; [unrolled: 1-line block ×3, first 2 shown]
	v_mul_f64 v[20:21], v[122:123], s[14:15]
	v_add_f64 v[14:15], v[16:17], v[14:15]
	v_fma_f64 v[22:23], v[104:105], s[4:5], v[20:21]
	v_fma_f64 v[16:17], v[104:105], s[4:5], -v[20:21]
	v_mul_f64 v[20:21], v[132:133], s[14:15]
	v_add_f64 v[8:9], v[22:23], v[8:9]
	v_mul_f64 v[22:23], v[118:119], s[14:15]
	v_add_f64 v[12:13], v[16:17], v[12:13]
	v_fma_f64 v[24:25], v[100:101], s[4:5], -v[22:23]
	v_fma_f64 v[16:17], v[100:101], s[4:5], v[22:23]
	v_mul_f64 v[22:23], v[126:127], s[34:35]
	v_add_f64 v[10:11], v[24:25], v[10:11]
	v_mul_f64 v[24:25], v[120:121], s[38:39]
	v_add_f64 v[14:15], v[16:17], v[14:15]
	v_fma_f64 v[26:27], v[96:97], s[12:13], v[24:25]
	v_fma_f64 v[16:17], v[96:97], s[12:13], -v[24:25]
	v_mul_f64 v[24:25], v[134:135], s[14:15]
	v_add_f64 v[8:9], v[26:27], v[8:9]
	v_mul_f64 v[26:27], v[110:111], s[38:39]
	v_add_f64 v[12:13], v[16:17], v[12:13]
	v_fma_f64 v[28:29], v[94:95], s[12:13], -v[26:27]
	v_fma_f64 v[16:17], v[94:95], s[12:13], v[26:27]
	v_mul_f64 v[26:27], v[124:125], s[34:35]
	v_add_f64 v[10:11], v[28:29], v[10:11]
	v_mul_f64 v[28:29], v[112:113], s[20:21]
	v_add_f64 v[14:15], v[16:17], v[14:15]
	v_fma_f64 v[30:31], v[92:93], s[10:11], v[28:29]
	v_fma_f64 v[16:17], v[92:93], s[10:11], -v[28:29]
	v_fma_f64 v[28:29], v[116:117], s[18:19], -v[26:27]
	v_add_f64 v[8:9], v[30:31], v[8:9]
	v_mul_f64 v[30:31], v[106:107], s[20:21]
	v_add_f64 v[12:13], v[16:17], v[12:13]
	v_fma_f64 v[32:33], v[90:91], s[10:11], -v[30:31]
	v_fma_f64 v[16:17], v[90:91], s[10:11], v[30:31]
	v_add_f64 v[10:11], v[32:33], v[10:11]
	v_mul_f64 v[32:33], v[108:109], s[34:35]
	v_add_f64 v[14:15], v[16:17], v[14:15]
	v_fma_f64 v[34:35], v[86:87], s[18:19], v[32:33]
	v_fma_f64 v[16:17], v[86:87], s[18:19], -v[32:33]
	v_add_f64 v[8:9], v[34:35], v[8:9]
	v_mul_f64 v[34:35], v[98:99], s[34:35]
	v_add_f64 v[12:13], v[16:17], v[12:13]
	v_fma_f64 v[36:37], v[84:85], s[18:19], -v[34:35]
	v_fma_f64 v[16:17], v[84:85], s[18:19], v[34:35]
	v_add_f64 v[10:11], v[36:37], v[10:11]
	v_mul_f64 v[36:37], v[102:103], s[26:27]
	v_add_f64 v[14:15], v[16:17], v[14:15]
	v_fma_f64 v[38:39], v[82:83], s[16:17], v[36:37]
	v_fma_f64 v[16:17], v[82:83], s[16:17], -v[36:37]
	v_add_f64 v[8:9], v[38:39], v[8:9]
	v_mul_f64 v[38:39], v[66:67], s[26:27]
	v_add_f64 v[12:13], v[16:17], v[12:13]
	v_fma_f64 v[16:17], v[80:81], s[16:17], v[38:39]
	v_fma_f64 v[40:41], v[80:81], s[16:17], -v[38:39]
	v_add_f64 v[16:17], v[16:17], v[14:15]
	v_fma_f64 v[14:15], v[78:79], s[24:25], -v[42:43]
	v_add_f64 v[40:41], v[40:41], v[10:11]
	v_fma_f64 v[10:11], v[78:79], s[24:25], v[42:43]
	v_add_f64 v[14:15], v[14:15], v[12:13]
	v_add_f64 v[12:13], v[18:19], v[16:17]
	v_fma_f64 v[16:17], v[130:131], s[4:5], v[20:21]
	v_fma_f64 v[18:19], v[114:115], s[18:19], v[22:23]
	v_fma_f64 v[20:21], v[130:131], s[4:5], -v[20:21]
	v_fma_f64 v[22:23], v[114:115], s[18:19], -v[22:23]
	v_add_f64 v[10:11], v[10:11], v[8:9]
	v_fma_f64 v[8:9], v[76:77], s[24:25], -v[44:45]
	v_add_f64 v[16:17], v[2:3], v[16:17]
	v_add_f64 v[20:21], v[2:3], v[20:21]
	;; [unrolled: 1-line block ×4, first 2 shown]
	v_fma_f64 v[18:19], v[128:129], s[4:5], -v[24:25]
	v_add_f64 v[20:21], v[22:23], v[20:21]
	v_fma_f64 v[22:23], v[128:129], s[4:5], v[24:25]
	v_fma_f64 v[24:25], v[116:117], s[18:19], v[26:27]
	;; [unrolled: 1-line block ×3, first 2 shown]
	v_add_f64 v[18:19], v[0:1], v[18:19]
	v_add_f64 v[22:23], v[0:1], v[22:23]
	;; [unrolled: 1-line block ×3, first 2 shown]
	v_mul_f64 v[28:29], v[122:123], s[30:31]
	v_add_f64 v[22:23], v[24:25], v[22:23]
	v_fma_f64 v[30:31], v[104:105], s[24:25], v[28:29]
	v_fma_f64 v[24:25], v[104:105], s[24:25], -v[28:29]
	v_mul_f64 v[28:29], v[132:133], s[20:21]
	v_add_f64 v[16:17], v[30:31], v[16:17]
	v_mul_f64 v[30:31], v[118:119], s[30:31]
	v_add_f64 v[20:21], v[24:25], v[20:21]
	v_fma_f64 v[32:33], v[100:101], s[24:25], -v[30:31]
	v_fma_f64 v[24:25], v[100:101], s[24:25], v[30:31]
	v_mul_f64 v[30:31], v[126:127], s[42:43]
	v_add_f64 v[18:19], v[32:33], v[18:19]
	v_mul_f64 v[32:33], v[120:121], s[48:49]
	v_add_f64 v[22:23], v[24:25], v[22:23]
	v_fma_f64 v[34:35], v[96:97], s[10:11], v[32:33]
	v_fma_f64 v[24:25], v[96:97], s[10:11], -v[32:33]
	v_mul_f64 v[32:33], v[134:135], s[20:21]
	v_add_f64 v[16:17], v[34:35], v[16:17]
	v_mul_f64 v[34:35], v[110:111], s[48:49]
	v_add_f64 v[20:21], v[24:25], v[20:21]
	v_fma_f64 v[36:37], v[94:95], s[10:11], -v[34:35]
	v_fma_f64 v[24:25], v[94:95], s[10:11], v[34:35]
	v_mul_f64 v[34:35], v[124:125], s[42:43]
	v_add_f64 v[18:19], v[36:37], v[18:19]
	v_mul_f64 v[36:37], v[112:113], s[36:37]
	v_add_f64 v[22:23], v[24:25], v[22:23]
	v_fma_f64 v[38:39], v[92:93], s[22:23], v[36:37]
	v_fma_f64 v[24:25], v[92:93], s[22:23], -v[36:37]
	v_fma_f64 v[36:37], v[116:117], s[16:17], -v[34:35]
	v_add_f64 v[16:17], v[38:39], v[16:17]
	v_mul_f64 v[38:39], v[106:107], s[36:37]
	v_add_f64 v[20:21], v[24:25], v[20:21]
	v_fma_f64 v[40:41], v[90:91], s[22:23], -v[38:39]
	v_fma_f64 v[24:25], v[90:91], s[22:23], v[38:39]
	v_add_f64 v[18:19], v[40:41], v[18:19]
	v_mul_f64 v[40:41], v[108:109], s[6:7]
	v_add_f64 v[22:23], v[24:25], v[22:23]
	v_fma_f64 v[42:43], v[86:87], s[0:1], v[40:41]
	v_fma_f64 v[24:25], v[86:87], s[0:1], -v[40:41]
	v_add_f64 v[16:17], v[42:43], v[16:17]
	v_mul_f64 v[42:43], v[98:99], s[6:7]
	v_add_f64 v[20:21], v[24:25], v[20:21]
	v_fma_f64 v[44:45], v[84:85], s[0:1], -v[42:43]
	v_fma_f64 v[24:25], v[84:85], s[0:1], v[42:43]
	v_add_f64 v[18:19], v[44:45], v[18:19]
	v_mul_f64 v[44:45], v[102:103], s[38:39]
	v_add_f64 v[22:23], v[24:25], v[22:23]
	v_fma_f64 v[46:47], v[82:83], s[12:13], v[44:45]
	v_fma_f64 v[24:25], v[82:83], s[12:13], -v[44:45]
	v_add_f64 v[16:17], v[46:47], v[16:17]
	v_mul_f64 v[46:47], v[66:67], s[38:39]
	v_add_f64 v[20:21], v[24:25], v[20:21]
	v_fma_f64 v[24:25], v[80:81], s[12:13], v[46:47]
	v_fma_f64 v[48:49], v[80:81], s[12:13], -v[46:47]
	v_add_f64 v[24:25], v[24:25], v[22:23]
	v_fma_f64 v[22:23], v[78:79], s[16:17], -v[50:51]
	v_add_f64 v[48:49], v[48:49], v[18:19]
	v_fma_f64 v[18:19], v[78:79], s[16:17], v[50:51]
	v_add_f64 v[22:23], v[22:23], v[20:21]
	v_add_f64 v[20:21], v[26:27], v[24:25]
	v_fma_f64 v[24:25], v[130:131], s[10:11], v[28:29]
	v_fma_f64 v[26:27], v[114:115], s[16:17], v[30:31]
	v_add_f64 v[18:19], v[18:19], v[16:17]
	v_fma_f64 v[16:17], v[76:77], s[16:17], -v[52:53]
	v_fma_f64 v[28:29], v[130:131], s[10:11], -v[28:29]
	;; [unrolled: 1-line block ×3, first 2 shown]
	v_add_f64 v[24:25], v[2:3], v[24:25]
	v_add_f64 v[16:17], v[16:17], v[48:49]
	;; [unrolled: 1-line block ×4, first 2 shown]
	v_fma_f64 v[26:27], v[128:129], s[10:11], -v[32:33]
	v_add_f64 v[28:29], v[30:31], v[28:29]
	v_add_f64 v[26:27], v[0:1], v[26:27]
	;; [unrolled: 1-line block ×3, first 2 shown]
	v_mul_f64 v[36:37], v[122:123], s[36:37]
	v_fma_f64 v[38:39], v[104:105], s[22:23], v[36:37]
	v_fma_f64 v[30:31], v[104:105], s[22:23], -v[36:37]
	v_mul_f64 v[36:37], v[132:133], s[26:27]
	v_add_f64 v[24:25], v[38:39], v[24:25]
	v_mul_f64 v[38:39], v[118:119], s[36:37]
	v_add_f64 v[28:29], v[30:31], v[28:29]
	v_fma_f64 v[40:41], v[100:101], s[22:23], -v[38:39]
	v_add_f64 v[26:27], v[40:41], v[26:27]
	v_mul_f64 v[40:41], v[120:121], s[14:15]
	v_fma_f64 v[42:43], v[96:97], s[4:5], v[40:41]
	v_fma_f64 v[30:31], v[96:97], s[4:5], -v[40:41]
	v_mul_f64 v[40:41], v[122:123], s[38:39]
	v_add_f64 v[24:25], v[42:43], v[24:25]
	v_mul_f64 v[42:43], v[110:111], s[14:15]
	v_add_f64 v[28:29], v[30:31], v[28:29]
	v_fma_f64 v[44:45], v[94:95], s[4:5], -v[42:43]
	v_add_f64 v[26:27], v[44:45], v[26:27]
	;; [unrolled: 9-line block ×4, first 2 shown]
	v_mul_f64 v[52:53], v[102:103], s[6:7]
	v_fma_f64 v[30:31], v[82:83], s[0:1], -v[52:53]
	v_fma_f64 v[54:55], v[82:83], s[0:1], v[52:53]
	v_mul_f64 v[52:53], v[124:125], s[46:47]
	v_add_f64 v[28:29], v[30:31], v[28:29]
	v_fma_f64 v[30:31], v[128:129], s[10:11], v[32:33]
	v_fma_f64 v[32:33], v[116:117], s[16:17], v[34:35]
	v_add_f64 v[24:25], v[54:55], v[24:25]
	v_mul_f64 v[54:55], v[66:67], s[6:7]
	v_fma_f64 v[34:35], v[76:77], s[18:19], v[60:61]
	v_add_f64 v[30:31], v[0:1], v[30:31]
	v_fma_f64 v[56:57], v[80:81], s[0:1], -v[54:55]
	v_add_f64 v[30:31], v[32:33], v[30:31]
	v_fma_f64 v[32:33], v[100:101], s[22:23], v[38:39]
	v_mul_f64 v[38:39], v[126:127], s[46:47]
	v_add_f64 v[56:57], v[56:57], v[26:27]
	v_fma_f64 v[26:27], v[78:79], s[18:19], v[58:59]
	v_add_f64 v[30:31], v[32:33], v[30:31]
	v_fma_f64 v[32:33], v[94:95], s[4:5], v[42:43]
	v_mul_f64 v[42:43], v[120:121], s[44:45]
	v_add_f64 v[26:27], v[26:27], v[24:25]
	v_fma_f64 v[24:25], v[76:77], s[18:19], -v[60:61]
	v_add_f64 v[30:31], v[32:33], v[30:31]
	v_fma_f64 v[32:33], v[90:91], s[24:25], v[46:47]
	v_mul_f64 v[46:47], v[108:109], s[50:51]
	v_add_f64 v[24:25], v[24:25], v[56:57]
	v_add_f64 v[30:31], v[32:33], v[30:31]
	v_fma_f64 v[32:33], v[84:85], s[12:13], v[50:51]
	v_mul_f64 v[50:51], v[134:135], s[26:27]
	v_add_f64 v[30:31], v[32:33], v[30:31]
	v_fma_f64 v[32:33], v[80:81], s[0:1], v[54:55]
	v_fma_f64 v[54:55], v[116:117], s[4:5], -v[52:53]
	v_add_f64 v[32:33], v[32:33], v[30:31]
	v_fma_f64 v[30:31], v[78:79], s[18:19], -v[58:59]
	v_add_f64 v[30:31], v[30:31], v[28:29]
	v_add_f64 v[28:29], v[34:35], v[32:33]
	v_fma_f64 v[32:33], v[130:131], s[16:17], v[36:37]
	v_fma_f64 v[34:35], v[114:115], s[4:5], v[38:39]
	v_fma_f64 v[36:37], v[130:131], s[16:17], -v[36:37]
	v_fma_f64 v[38:39], v[114:115], s[4:5], -v[38:39]
	v_add_f64 v[32:33], v[2:3], v[32:33]
	v_add_f64 v[36:37], v[2:3], v[36:37]
	;; [unrolled: 1-line block ×3, first 2 shown]
	v_fma_f64 v[34:35], v[104:105], s[12:13], v[40:41]
	v_add_f64 v[36:37], v[38:39], v[36:37]
	v_fma_f64 v[38:39], v[104:105], s[12:13], -v[40:41]
	v_fma_f64 v[40:41], v[116:117], s[4:5], v[52:53]
	v_mul_f64 v[52:53], v[112:113], s[44:45]
	v_add_f64 v[32:33], v[34:35], v[32:33]
	v_fma_f64 v[34:35], v[96:97], s[18:19], v[42:43]
	v_add_f64 v[36:37], v[38:39], v[36:37]
	v_fma_f64 v[38:39], v[96:97], s[18:19], -v[42:43]
	v_fma_f64 v[42:43], v[76:77], s[10:11], v[145:146]
	v_add_f64 v[32:33], v[34:35], v[32:33]
	v_fma_f64 v[34:35], v[92:93], s[0:1], v[44:45]
	v_add_f64 v[36:37], v[38:39], v[36:37]
	v_fma_f64 v[38:39], v[92:93], s[0:1], -v[44:45]
	v_mul_f64 v[44:45], v[132:133], s[30:31]
	v_add_f64 v[32:33], v[34:35], v[32:33]
	v_fma_f64 v[34:35], v[86:87], s[24:25], v[46:47]
	v_add_f64 v[36:37], v[38:39], v[36:37]
	v_fma_f64 v[38:39], v[86:87], s[24:25], -v[46:47]
	v_mul_f64 v[46:47], v[126:127], s[6:7]
	;; [unrolled: 5-line block ×3, first 2 shown]
	v_add_f64 v[32:33], v[34:35], v[32:33]
	v_fma_f64 v[34:35], v[128:129], s[16:17], -v[50:51]
	v_add_f64 v[36:37], v[38:39], v[36:37]
	v_fma_f64 v[38:39], v[128:129], s[16:17], v[50:51]
	v_mul_f64 v[50:51], v[120:121], s[28:29]
	v_add_f64 v[34:35], v[0:1], v[34:35]
	v_add_f64 v[38:39], v[0:1], v[38:39]
	v_add_f64 v[34:35], v[54:55], v[34:35]
	v_mul_f64 v[54:55], v[118:119], s[38:39]
	v_add_f64 v[38:39], v[40:41], v[38:39]
	v_fma_f64 v[56:57], v[100:101], s[12:13], -v[54:55]
	v_fma_f64 v[40:41], v[100:101], s[12:13], v[54:55]
	v_mul_f64 v[54:55], v[108:109], s[14:15]
	v_add_f64 v[34:35], v[56:57], v[34:35]
	v_mul_f64 v[56:57], v[110:111], s[44:45]
	v_add_f64 v[38:39], v[40:41], v[38:39]
	v_fma_f64 v[58:59], v[94:95], s[18:19], -v[56:57]
	v_fma_f64 v[40:41], v[94:95], s[18:19], v[56:57]
	v_mul_f64 v[56:57], v[102:103], s[48:49]
	v_add_f64 v[34:35], v[58:59], v[34:35]
	;; [unrolled: 6-line block ×4, first 2 shown]
	v_mul_f64 v[62:63], v[66:67], s[36:37]
	v_add_f64 v[38:39], v[40:41], v[38:39]
	v_fma_f64 v[40:41], v[80:81], s[22:23], v[62:63]
	v_fma_f64 v[141:142], v[80:81], s[22:23], -v[62:63]
	v_fma_f64 v[62:63], v[116:117], s[0:1], -v[60:61]
	v_add_f64 v[40:41], v[40:41], v[38:39]
	v_fma_f64 v[38:39], v[78:79], s[10:11], -v[143:144]
	v_add_f64 v[141:142], v[141:142], v[34:35]
	v_fma_f64 v[34:35], v[78:79], s[10:11], v[143:144]
	v_add_f64 v[38:39], v[38:39], v[36:37]
	v_add_f64 v[36:37], v[42:43], v[40:41]
	v_fma_f64 v[40:41], v[130:131], s[24:25], v[44:45]
	v_fma_f64 v[42:43], v[114:115], s[0:1], v[46:47]
	v_fma_f64 v[44:45], v[130:131], s[24:25], -v[44:45]
	v_fma_f64 v[46:47], v[114:115], s[0:1], -v[46:47]
	v_add_f64 v[34:35], v[34:35], v[32:33]
	v_fma_f64 v[32:33], v[76:77], s[10:11], -v[145:146]
	v_add_f64 v[40:41], v[2:3], v[40:41]
	v_add_f64 v[44:45], v[2:3], v[44:45]
	;; [unrolled: 1-line block ×4, first 2 shown]
	v_fma_f64 v[42:43], v[104:105], s[16:17], v[48:49]
	v_add_f64 v[44:45], v[46:47], v[44:45]
	v_fma_f64 v[46:47], v[104:105], s[16:17], -v[48:49]
	v_fma_f64 v[48:49], v[116:117], s[0:1], v[60:61]
	v_mul_f64 v[60:61], v[112:113], s[38:39]
	v_add_f64 v[40:41], v[42:43], v[40:41]
	v_fma_f64 v[42:43], v[96:97], s[22:23], v[50:51]
	v_add_f64 v[44:45], v[46:47], v[44:45]
	v_fma_f64 v[46:47], v[96:97], s[22:23], -v[50:51]
	v_add_f64 v[40:41], v[42:43], v[40:41]
	v_fma_f64 v[42:43], v[92:93], s[18:19], v[52:53]
	v_add_f64 v[44:45], v[46:47], v[44:45]
	v_fma_f64 v[46:47], v[92:93], s[18:19], -v[52:53]
	v_fma_f64 v[52:53], v[76:77], s[12:13], v[153:154]
	v_add_f64 v[40:41], v[42:43], v[40:41]
	v_fma_f64 v[42:43], v[86:87], s[4:5], v[54:55]
	v_add_f64 v[44:45], v[46:47], v[44:45]
	v_fma_f64 v[46:47], v[86:87], s[4:5], -v[54:55]
	v_mul_f64 v[54:55], v[126:127], s[20:21]
	v_add_f64 v[40:41], v[42:43], v[40:41]
	v_fma_f64 v[42:43], v[82:83], s[10:11], v[56:57]
	v_add_f64 v[44:45], v[46:47], v[44:45]
	v_fma_f64 v[46:47], v[82:83], s[10:11], -v[56:57]
	v_add_f64 v[40:41], v[42:43], v[40:41]
	v_fma_f64 v[42:43], v[128:129], s[24:25], -v[58:59]
	v_add_f64 v[44:45], v[46:47], v[44:45]
	v_fma_f64 v[46:47], v[128:129], s[24:25], v[58:59]
	v_mul_f64 v[58:59], v[120:121], s[42:43]
	v_add_f64 v[42:43], v[0:1], v[42:43]
	v_add_f64 v[46:47], v[0:1], v[46:47]
	;; [unrolled: 1-line block ×3, first 2 shown]
	v_mul_f64 v[62:63], v[118:119], s[42:43]
	v_add_f64 v[46:47], v[48:49], v[46:47]
	v_fma_f64 v[141:142], v[100:101], s[16:17], -v[62:63]
	v_fma_f64 v[48:49], v[100:101], s[16:17], v[62:63]
	v_mul_f64 v[62:63], v[108:109], s[36:37]
	v_add_f64 v[42:43], v[141:142], v[42:43]
	v_mul_f64 v[141:142], v[110:111], s[28:29]
	v_add_f64 v[46:47], v[48:49], v[46:47]
	v_fma_f64 v[143:144], v[94:95], s[22:23], -v[141:142]
	v_fma_f64 v[48:49], v[94:95], s[22:23], v[141:142]
	v_mul_f64 v[141:142], v[102:103], s[30:31]
	v_add_f64 v[42:43], v[143:144], v[42:43]
	;; [unrolled: 6-line block ×4, first 2 shown]
	v_mul_f64 v[147:148], v[66:67], s[48:49]
	v_add_f64 v[46:47], v[48:49], v[46:47]
	s_mov_b32 s49, 0x3fc7851a
	s_mov_b32 s48, s6
	v_mul_f64 v[56:57], v[122:123], s[48:49]
	v_fma_f64 v[48:49], v[80:81], s[10:11], v[147:148]
	v_fma_f64 v[149:150], v[80:81], s[10:11], -v[147:148]
	v_fma_f64 v[147:148], v[116:117], s[10:11], -v[145:146]
	v_add_f64 v[46:47], v[48:49], v[46:47]
	v_fma_f64 v[48:49], v[78:79], s[12:13], -v[151:152]
	v_add_f64 v[149:150], v[149:150], v[42:43]
	v_fma_f64 v[42:43], v[78:79], s[12:13], v[151:152]
	v_add_f64 v[50:51], v[48:49], v[44:45]
	v_add_f64 v[48:49], v[52:53], v[46:47]
	v_mul_f64 v[52:53], v[132:133], s[44:45]
	v_fma_f64 v[46:47], v[114:115], s[10:11], v[54:55]
	v_fma_f64 v[54:55], v[114:115], s[10:11], -v[54:55]
	v_add_f64 v[42:43], v[42:43], v[40:41]
	v_fma_f64 v[40:41], v[76:77], s[12:13], -v[153:154]
	v_fma_f64 v[44:45], v[130:131], s[18:19], v[52:53]
	v_fma_f64 v[52:53], v[130:131], s[18:19], -v[52:53]
	v_add_f64 v[40:41], v[40:41], v[149:150]
	v_add_f64 v[44:45], v[2:3], v[44:45]
	v_add_f64 v[52:53], v[2:3], v[52:53]
	v_add_f64 v[44:45], v[46:47], v[44:45]
	v_fma_f64 v[46:47], v[104:105], s[0:1], v[56:57]
	v_add_f64 v[52:53], v[54:55], v[52:53]
	v_fma_f64 v[54:55], v[104:105], s[0:1], -v[56:57]
	v_fma_f64 v[56:57], v[116:117], s[10:11], v[145:146]
	v_mul_f64 v[145:146], v[112:113], s[46:47]
	v_mul_f64 v[112:113], v[112:113], s[26:27]
	v_add_f64 v[44:45], v[46:47], v[44:45]
	v_fma_f64 v[46:47], v[96:97], s[16:17], v[58:59]
	v_add_f64 v[52:53], v[54:55], v[52:53]
	v_fma_f64 v[54:55], v[96:97], s[16:17], -v[58:59]
	v_add_f64 v[44:45], v[46:47], v[44:45]
	v_fma_f64 v[46:47], v[92:93], s[12:13], v[60:61]
	v_add_f64 v[52:53], v[54:55], v[52:53]
	v_fma_f64 v[54:55], v[92:93], s[12:13], -v[60:61]
	v_fma_f64 v[60:61], v[76:77], s[4:5], v[161:162]
	v_add_f64 v[44:45], v[46:47], v[44:45]
	v_fma_f64 v[46:47], v[86:87], s[22:23], v[62:63]
	v_add_f64 v[52:53], v[54:55], v[52:53]
	v_fma_f64 v[54:55], v[86:87], s[22:23], -v[62:63]
	v_mul_f64 v[62:63], v[126:127], s[30:31]
	v_mul_f64 v[126:127], v[126:127], s[40:41]
	v_add_f64 v[44:45], v[46:47], v[44:45]
	v_fma_f64 v[46:47], v[82:83], s[24:25], v[141:142]
	v_add_f64 v[52:53], v[54:55], v[52:53]
	v_fma_f64 v[54:55], v[82:83], s[24:25], -v[141:142]
	v_mul_f64 v[141:142], v[122:123], s[20:21]
	v_mul_f64 v[122:123], v[122:123], s[44:45]
	v_add_f64 v[44:45], v[46:47], v[44:45]
	v_fma_f64 v[46:47], v[128:129], s[18:19], -v[143:144]
	v_add_f64 v[52:53], v[54:55], v[52:53]
	v_fma_f64 v[54:55], v[128:129], s[18:19], v[143:144]
	v_mul_f64 v[143:144], v[120:121], s[6:7]
	v_mul_f64 v[120:121], v[120:121], s[30:31]
	v_add_f64 v[46:47], v[0:1], v[46:47]
	v_add_f64 v[54:55], v[0:1], v[54:55]
	;; [unrolled: 1-line block ×3, first 2 shown]
	v_mul_f64 v[147:148], v[118:119], s[48:49]
	v_add_f64 v[54:55], v[56:57], v[54:55]
	v_fma_f64 v[149:150], v[100:101], s[0:1], -v[147:148]
	v_fma_f64 v[56:57], v[100:101], s[0:1], v[147:148]
	v_mul_f64 v[147:148], v[108:109], s[42:43]
	v_mul_f64 v[108:109], v[108:109], s[20:21]
	v_add_f64 v[46:47], v[149:150], v[46:47]
	v_mul_f64 v[149:150], v[110:111], s[42:43]
	v_add_f64 v[54:55], v[56:57], v[54:55]
	v_fma_f64 v[151:152], v[94:95], s[16:17], -v[149:150]
	v_fma_f64 v[56:57], v[94:95], s[16:17], v[149:150]
	v_mul_f64 v[149:150], v[102:103], s[34:35]
	v_mul_f64 v[102:103], v[102:103], s[14:15]
	v_add_f64 v[46:47], v[151:152], v[46:47]
	v_mul_f64 v[151:152], v[106:107], s[38:39]
	v_add_f64 v[54:55], v[56:57], v[54:55]
	v_fma_f64 v[153:154], v[90:91], s[12:13], -v[151:152]
	v_fma_f64 v[56:57], v[90:91], s[12:13], v[151:152]
	v_mul_f64 v[151:152], v[134:135], s[40:41]
	v_add_f64 v[46:47], v[153:154], v[46:47]
	v_mul_f64 v[153:154], v[98:99], s[36:37]
	v_add_f64 v[54:55], v[56:57], v[54:55]
	v_fma_f64 v[155:156], v[84:85], s[22:23], -v[153:154]
	v_fma_f64 v[56:57], v[84:85], s[22:23], v[153:154]
	v_mul_f64 v[153:154], v[124:125], s[30:31]
	v_mul_f64 v[124:125], v[124:125], s[40:41]
	v_add_f64 v[46:47], v[155:156], v[46:47]
	v_mul_f64 v[155:156], v[66:67], s[30:31]
	v_add_f64 v[54:55], v[56:57], v[54:55]
	v_fma_f64 v[56:57], v[80:81], s[24:25], v[155:156]
	v_fma_f64 v[157:158], v[80:81], s[24:25], -v[155:156]
	v_fma_f64 v[155:156], v[116:117], s[24:25], -v[153:154]
	v_add_f64 v[54:55], v[56:57], v[54:55]
	v_fma_f64 v[56:57], v[78:79], s[4:5], -v[159:160]
	v_add_f64 v[157:158], v[157:158], v[46:47]
	v_fma_f64 v[46:47], v[78:79], s[4:5], v[159:160]
	v_add_f64 v[58:59], v[56:57], v[52:53]
	v_add_f64 v[56:57], v[60:61], v[54:55]
	v_mul_f64 v[60:61], v[132:133], s[40:41]
	v_fma_f64 v[54:55], v[114:115], s[24:25], v[62:63]
	v_fma_f64 v[62:63], v[114:115], s[24:25], -v[62:63]
	v_add_f64 v[46:47], v[46:47], v[44:45]
	v_fma_f64 v[44:45], v[76:77], s[4:5], -v[161:162]
	v_mul_f64 v[132:133], v[132:133], s[36:37]
	v_fma_f64 v[52:53], v[130:131], s[12:13], v[60:61]
	v_fma_f64 v[60:61], v[130:131], s[12:13], -v[60:61]
	v_add_f64 v[44:45], v[44:45], v[157:158]
	v_add_f64 v[52:53], v[2:3], v[52:53]
	;; [unrolled: 1-line block ×4, first 2 shown]
	v_fma_f64 v[54:55], v[104:105], s[10:11], v[141:142]
	v_add_f64 v[60:61], v[62:63], v[60:61]
	v_fma_f64 v[62:63], v[104:105], s[10:11], -v[141:142]
	v_fma_f64 v[141:142], v[116:117], s[24:25], v[153:154]
	v_add_f64 v[52:53], v[54:55], v[52:53]
	v_fma_f64 v[54:55], v[96:97], s[0:1], v[143:144]
	v_add_f64 v[60:61], v[62:63], v[60:61]
	v_fma_f64 v[62:63], v[96:97], s[0:1], -v[143:144]
	v_fma_f64 v[143:144], v[76:77], s[22:23], v[169:170]
	v_add_f64 v[52:53], v[54:55], v[52:53]
	v_fma_f64 v[54:55], v[92:93], s[4:5], v[145:146]
	v_add_f64 v[60:61], v[62:63], v[60:61]
	v_fma_f64 v[62:63], v[92:93], s[4:5], -v[145:146]
	v_add_f64 v[52:53], v[54:55], v[52:53]
	v_fma_f64 v[54:55], v[86:87], s[16:17], v[147:148]
	v_add_f64 v[60:61], v[62:63], v[60:61]
	v_fma_f64 v[62:63], v[86:87], s[16:17], -v[147:148]
	;; [unrolled: 4-line block ×3, first 2 shown]
	v_add_f64 v[52:53], v[54:55], v[52:53]
	v_fma_f64 v[54:55], v[128:129], s[12:13], -v[151:152]
	v_add_f64 v[60:61], v[62:63], v[60:61]
	v_fma_f64 v[62:63], v[128:129], s[12:13], v[151:152]
	v_add_f64 v[54:55], v[0:1], v[54:55]
	v_add_f64 v[62:63], v[0:1], v[62:63]
	;; [unrolled: 1-line block ×3, first 2 shown]
	v_mul_f64 v[155:156], v[118:119], s[20:21]
	v_add_f64 v[62:63], v[141:142], v[62:63]
	v_mul_f64 v[118:119], v[118:119], s[44:45]
	v_fma_f64 v[157:158], v[100:101], s[10:11], -v[155:156]
	v_fma_f64 v[141:142], v[100:101], s[10:11], v[155:156]
	v_add_f64 v[54:55], v[157:158], v[54:55]
	v_mul_f64 v[157:158], v[110:111], s[6:7]
	v_add_f64 v[62:63], v[141:142], v[62:63]
	v_mul_f64 v[110:111], v[110:111], s[30:31]
	v_fma_f64 v[159:160], v[94:95], s[0:1], -v[157:158]
	v_fma_f64 v[141:142], v[94:95], s[0:1], v[157:158]
	v_add_f64 v[54:55], v[159:160], v[54:55]
	;; [unrolled: 6-line block ×4, first 2 shown]
	v_mul_f64 v[163:164], v[66:67], s[34:35]
	v_add_f64 v[62:63], v[141:142], v[62:63]
	v_fma_f64 v[141:142], v[80:81], s[18:19], v[163:164]
	v_fma_f64 v[165:166], v[80:81], s[18:19], -v[163:164]
	v_add_f64 v[141:142], v[141:142], v[62:63]
	v_fma_f64 v[62:63], v[78:79], s[22:23], -v[167:168]
	v_add_f64 v[165:166], v[165:166], v[54:55]
	v_fma_f64 v[54:55], v[78:79], s[22:23], v[167:168]
	v_add_f64 v[62:63], v[62:63], v[60:61]
	v_add_f64 v[60:61], v[143:144], v[141:142]
	v_fma_f64 v[141:142], v[130:131], s[22:23], v[132:133]
	v_fma_f64 v[130:131], v[130:131], s[22:23], -v[132:133]
	v_mul_f64 v[132:133], v[134:135], s[36:37]
	v_add_f64 v[54:55], v[54:55], v[52:53]
	v_fma_f64 v[52:53], v[76:77], s[22:23], -v[169:170]
	v_fma_f64 v[134:135], v[128:129], s[22:23], -v[132:133]
	v_fma_f64 v[128:129], v[128:129], s[22:23], v[132:133]
	v_add_f64 v[132:133], v[2:3], v[141:142]
	v_add_f64 v[2:3], v[2:3], v[130:131]
	v_mul_f64 v[130:131], v[64:65], s[6:7]
	v_fma_f64 v[64:65], v[78:79], s[0:1], -v[88:89]
	v_fma_f64 v[78:79], v[78:79], s[0:1], v[88:89]
	v_add_f64 v[52:53], v[52:53], v[165:166]
	v_add_f64 v[134:135], v[0:1], v[134:135]
	;; [unrolled: 1-line block ×3, first 2 shown]
	v_fma_f64 v[128:129], v[114:115], s[12:13], -v[126:127]
	v_add_f64 v[2:3], v[128:129], v[2:3]
	v_fma_f64 v[128:129], v[104:105], s[18:19], -v[122:123]
	v_fma_f64 v[104:105], v[104:105], s[18:19], v[122:123]
	v_add_f64 v[2:3], v[128:129], v[2:3]
	v_fma_f64 v[128:129], v[96:97], s[24:25], -v[120:121]
	v_fma_f64 v[96:97], v[96:97], s[24:25], v[120:121]
	v_add_f64 v[2:3], v[128:129], v[2:3]
	v_fma_f64 v[128:129], v[92:93], s[16:17], -v[112:113]
	v_fma_f64 v[92:93], v[92:93], s[16:17], v[112:113]
	v_add_f64 v[2:3], v[128:129], v[2:3]
	v_fma_f64 v[128:129], v[86:87], s[10:11], -v[108:109]
	v_fma_f64 v[86:87], v[86:87], s[10:11], v[108:109]
	v_add_f64 v[2:3], v[128:129], v[2:3]
	v_fma_f64 v[128:129], v[82:83], s[4:5], -v[102:103]
	v_fma_f64 v[82:83], v[82:83], s[4:5], v[102:103]
	v_add_f64 v[2:3], v[128:129], v[2:3]
	v_fma_f64 v[128:129], v[116:117], s[12:13], v[124:125]
	v_add_f64 v[0:1], v[128:129], v[0:1]
	v_fma_f64 v[128:129], v[100:101], s[18:19], v[118:119]
	v_fma_f64 v[100:101], v[100:101], s[18:19], -v[118:119]
	v_add_f64 v[0:1], v[128:129], v[0:1]
	v_fma_f64 v[128:129], v[94:95], s[24:25], v[110:111]
	v_fma_f64 v[94:95], v[94:95], s[24:25], -v[110:111]
	;; [unrolled: 3-line block ×4, first 2 shown]
	v_add_f64 v[0:1], v[128:129], v[0:1]
	v_mul_f64 v[128:129], v[66:67], s[14:15]
	v_fma_f64 v[66:67], v[80:81], s[4:5], v[128:129]
	v_fma_f64 v[80:81], v[80:81], s[4:5], -v[128:129]
	v_add_f64 v[0:1], v[66:67], v[0:1]
	v_add_f64 v[66:67], v[64:65], v[2:3]
	v_fma_f64 v[2:3], v[76:77], s[0:1], v[130:131]
	v_fma_f64 v[76:77], v[76:77], s[0:1], -v[130:131]
	v_add_f64 v[64:65], v[2:3], v[0:1]
	v_fma_f64 v[0:1], v[114:115], s[12:13], v[126:127]
	v_fma_f64 v[2:3], v[116:117], s[12:13], -v[124:125]
	v_add_f64 v[0:1], v[0:1], v[132:133]
	v_add_f64 v[2:3], v[2:3], v[134:135]
	;; [unrolled: 1-line block ×14, first 2 shown]
	v_mul_u32_u24_e32 v76, 0x110, v68
	v_add3_u32 v76, 0, v76, v136
	ds_write_b128 v76, v[4:7]
	ds_write_b128 v76, v[64:67] offset:16
	ds_write_b128 v76, v[60:63] offset:32
	;; [unrolled: 1-line block ×16, first 2 shown]
.LBB0_18:
	s_or_b32 exec_lo, exec_lo, s33
	v_add_nc_u16 v2, v68, 34
	v_add_nc_u16 v8, v68, 0x44
	;; [unrolled: 1-line block ×5, first 2 shown]
	v_and_b32_e32 v0, 0xff, v2
	v_and_b32_e32 v3, 0xff, v8
	;; [unrolled: 1-line block ×3, first 2 shown]
	v_add_nc_u16 v12, v68, 0xcc
	v_subrev_nc_u32_e32 v1, 17, v68
	v_mul_lo_u16 v0, 0xf1, v0
	v_cmp_gt_u32_e64 s0, 17, v68
	v_and_b32_e32 v5, 0xff, v10
	v_mul_lo_u16 v3, 0xf1, v3
	v_and_b32_e32 v13, 0xff, v11
	v_mul_lo_u16 v15, 0xf1, v4
	v_and_b32_e32 v14, 0xff, v12
	v_mov_b32_e32 v93, v69
	v_lshrrev_b16 v69, 12, v0
	v_cndmask_b32_e64 v92, v1, v68, s0
	v_mul_lo_u16 v17, 0xf1, v5
	v_lshrrev_b16 v108, 12, v3
	v_mul_lo_u16 v13, 0xf1, v13
	v_lshrrev_b16 v109, 12, v15
	v_mul_lo_u16 v14, 0xf1, v14
	v_mul_lo_u16 v6, v69, 17
	v_lshlrev_b64 v[0:1], 4, v[92:93]
	v_lshrrev_b16 v110, 12, v17
	v_mul_lo_u16 v15, v108, 17
	v_lshrrev_b16 v111, 12, v13
	v_mul_lo_u16 v13, v109, 17
	v_lshrrev_b16 v112, 12, v14
	v_mov_b32_e32 v16, 4
	v_sub_nc_u16 v2, v2, v6
	v_mul_lo_u16 v14, v110, 17
	v_sub_nc_u16 v8, v8, v15
	v_add_co_u32 v0, s0, s8, v0
	v_mul_lo_u16 v15, v111, 17
	v_sub_nc_u16 v9, v9, v13
	v_add_co_ci_u32_e64 v1, s0, s9, v1, s0
	v_mul_lo_u16 v13, v112, 17
	v_lshlrev_b32_sdwa v107, v16, v2 dst_sel:DWORD dst_unused:UNUSED_PAD src0_sel:DWORD src1_sel:BYTE_0
	v_sub_nc_u16 v10, v10, v14
	v_lshlrev_b32_sdwa v113, v16, v8 dst_sel:DWORD dst_unused:UNUSED_PAD src0_sel:DWORD src1_sel:BYTE_0
	v_sub_nc_u16 v14, v11, v15
	v_lshlrev_b32_sdwa v114, v16, v9 dst_sel:DWORD dst_unused:UNUSED_PAD src0_sel:DWORD src1_sel:BYTE_0
	s_waitcnt lgkmcnt(0)
	s_barrier
	buffer_gl0_inv
	s_clause 0x1
	global_load_dwordx4 v[0:3], v[0:1], off
	global_load_dwordx4 v[4:7], v107, s[8:9]
	v_sub_nc_u16 v17, v12, v13
	v_lshlrev_b32_sdwa v115, v16, v10 dst_sel:DWORD dst_unused:UNUSED_PAD src0_sel:DWORD src1_sel:BYTE_0
	global_load_dwordx4 v[8:11], v113, s[8:9]
	v_lshlrev_b32_sdwa v116, v16, v14 dst_sel:DWORD dst_unused:UNUSED_PAD src0_sel:DWORD src1_sel:BYTE_0
	global_load_dwordx4 v[12:15], v114, s[8:9]
	v_lshlrev_b32_sdwa v117, v16, v17 dst_sel:DWORD dst_unused:UNUSED_PAD src0_sel:DWORD src1_sel:BYTE_0
	s_clause 0x2
	global_load_dwordx4 v[16:19], v115, s[8:9]
	global_load_dwordx4 v[20:23], v116, s[8:9]
	global_load_dwordx4 v[24:27], v117, s[8:9]
	ds_read_b128 v[28:31], v139 offset:3808
	ds_read_b128 v[32:35], v139 offset:4352
	;; [unrolled: 1-line block ×7, first 2 shown]
	ds_read_b128 v[56:59], v138
	ds_read_b128 v[60:63], v139 offset:544
	ds_read_b128 v[64:67], v139 offset:3264
	;; [unrolled: 1-line block ×6, first 2 shown]
	v_cmp_lt_u32_e64 s0, 16, v68
	v_mul_u32_u24_e32 v119, 6, v68
	v_lshlrev_b32_e32 v92, 4, v92
	s_waitcnt vmcnt(0) lgkmcnt(0)
	s_barrier
	v_cndmask_b32_e64 v118, 0, 0x220, s0
	buffer_gl0_inv
	s_mov_b32 s4, 0x36b3c0b5
	s_mov_b32 s5, 0x3fac98ee
	;; [unrolled: 1-line block ×3, first 2 shown]
	v_add_nc_u32_e32 v118, 0, v118
	s_mov_b32 s14, 0xe976ee23
	s_mov_b32 s6, 0x429ad128
	;; [unrolled: 1-line block ×4, first 2 shown]
	v_add3_u32 v92, v118, v92, v136
	s_mov_b32 s7, 0xbfebfeb5
	s_mov_b32 s16, 0x5476071b
	;; [unrolled: 1-line block ×12, first 2 shown]
	v_mul_f64 v[93:94], v[30:31], v[2:3]
	v_mul_f64 v[2:3], v[28:29], v[2:3]
	v_mul_f64 v[95:96], v[34:35], v[6:7]
	v_mul_f64 v[6:7], v[32:33], v[6:7]
	v_mul_f64 v[97:98], v[38:39], v[10:11]
	v_mul_f64 v[10:11], v[36:37], v[10:11]
	v_mul_f64 v[99:100], v[42:43], v[14:15]
	v_mul_f64 v[14:15], v[40:41], v[14:15]
	v_mul_f64 v[101:102], v[46:47], v[18:19]
	v_mul_f64 v[18:19], v[44:45], v[18:19]
	v_mul_f64 v[103:104], v[50:51], v[22:23]
	v_mul_f64 v[22:23], v[48:49], v[22:23]
	v_mul_f64 v[105:106], v[54:55], v[26:27]
	v_mul_f64 v[26:27], v[52:53], v[26:27]
	v_fma_f64 v[28:29], v[28:29], v[0:1], v[93:94]
	v_fma_f64 v[2:3], v[30:31], v[0:1], -v[2:3]
	v_fma_f64 v[30:31], v[32:33], v[4:5], v[95:96]
	v_fma_f64 v[6:7], v[34:35], v[4:5], -v[6:7]
	;; [unrolled: 2-line block ×7, first 2 shown]
	v_and_b32_e32 v42, 0xffff, v69
	v_and_b32_e32 v43, 0xffff, v108
	;; [unrolled: 1-line block ×4, first 2 shown]
	v_lshlrev_b32_e32 v93, 4, v119
	v_mad_u32_u24 v69, 0x220, v42, 0
	v_mad_u32_u24 v94, 0x220, v43, 0
	v_mad_u32_u24 v95, 0x220, v44, 0
	v_add_f64 v[0:1], v[56:57], -v[28:29]
	v_add_f64 v[2:3], v[58:59], -v[2:3]
	;; [unrolled: 1-line block ×14, first 2 shown]
	v_and_b32_e32 v28, 0xffff, v111
	v_and_b32_e32 v29, 0xffff, v112
	v_mad_u32_u24 v96, 0x220, v45, 0
	v_mad_u32_u24 v97, 0x220, v28, 0
	;; [unrolled: 1-line block ×3, first 2 shown]
	v_fma_f64 v[28:29], v[56:57], 2.0, -v[0:1]
	v_fma_f64 v[30:31], v[58:59], 2.0, -v[2:3]
	;; [unrolled: 1-line block ×14, first 2 shown]
	v_add3_u32 v56, v69, v107, v136
	v_add3_u32 v57, v94, v113, v136
	;; [unrolled: 1-line block ×6, first 2 shown]
	ds_write_b128 v92, v[0:3] offset:272
	ds_write_b128 v92, v[28:31]
	ds_write_b128 v56, v[4:7] offset:272
	ds_write_b128 v56, v[32:35]
	ds_write_b128 v57, v[36:39]
	ds_write_b128 v57, v[8:11] offset:272
	ds_write_b128 v58, v[40:43]
	ds_write_b128 v58, v[12:15] offset:272
	;; [unrolled: 2-line block ×5, first 2 shown]
	s_waitcnt lgkmcnt(0)
	s_barrier
	buffer_gl0_inv
	s_clause 0x5
	global_load_dwordx4 v[8:11], v93, s[8:9] offset:272
	global_load_dwordx4 v[4:7], v93, s[8:9] offset:288
	;; [unrolled: 1-line block ×6, first 2 shown]
	ds_read_b128 v[24:27], v139 offset:1088
	ds_read_b128 v[28:31], v139 offset:2176
	;; [unrolled: 1-line block ×6, first 2 shown]
	v_add_co_u32 v69, s0, s8, v72
	v_add_co_ci_u32_e64 v114, s0, s9, v73, s0
	v_add_co_u32 v115, s0, s8, v74
	v_add_co_ci_u32_e64 v116, s0, s9, v75, s0
	ds_read_b128 v[48:51], v139 offset:1632
	ds_read_b128 v[52:55], v139 offset:2720
	;; [unrolled: 1-line block ×6, first 2 shown]
	s_mov_b32 s0, s16
	s_waitcnt vmcnt(5) lgkmcnt(11)
	v_mul_f64 v[76:77], v[26:27], v[10:11]
	v_mul_f64 v[78:79], v[24:25], v[10:11]
	s_waitcnt vmcnt(4) lgkmcnt(10)
	v_mul_f64 v[80:81], v[30:31], v[6:7]
	v_mul_f64 v[82:83], v[28:29], v[6:7]
	;; [unrolled: 3-line block ×4, first 2 shown]
	v_mul_f64 v[84:85], v[34:35], v[2:3]
	v_mul_f64 v[86:87], v[32:33], v[2:3]
	s_waitcnt vmcnt(0)
	v_mul_f64 v[96:97], v[38:39], v[14:15]
	v_mul_f64 v[98:99], v[36:37], v[14:15]
	s_waitcnt lgkmcnt(5)
	v_mul_f64 v[100:101], v[50:51], v[10:11]
	v_mul_f64 v[10:11], v[48:49], v[10:11]
	s_waitcnt lgkmcnt(4)
	;; [unrolled: 3-line block ×4, first 2 shown]
	v_mul_f64 v[110:111], v[74:75], v[22:23]
	v_mul_f64 v[112:113], v[72:73], v[22:23]
	;; [unrolled: 1-line block ×6, first 2 shown]
	v_fma_f64 v[76:77], v[24:25], v[8:9], v[76:77]
	v_fma_f64 v[78:79], v[26:27], v[8:9], -v[78:79]
	v_fma_f64 v[80:81], v[28:29], v[4:5], v[80:81]
	v_fma_f64 v[30:31], v[30:31], v[4:5], -v[82:83]
	;; [unrolled: 2-line block ×12, first 2 shown]
	ds_read_b128 v[22:25], v138
	ds_read_b128 v[26:29], v139 offset:544
	s_waitcnt lgkmcnt(0)
	v_add_f64 v[14:15], v[76:77], v[40:41]
	v_add_f64 v[52:53], v[78:79], v[42:43]
	;; [unrolled: 1-line block ×4, first 2 shown]
	v_add_f64 v[30:31], v[30:31], -v[46:47]
	v_add_f64 v[40:41], v[76:77], -v[40:41]
	v_add_f64 v[58:59], v[32:33], v[36:37]
	v_add_f64 v[60:61], v[34:35], v[38:39]
	v_add_f64 v[32:33], v[36:37], -v[32:33]
	v_add_f64 v[34:35], v[38:39], -v[34:35]
	v_add_f64 v[36:37], v[48:49], v[10:11]
	v_add_f64 v[38:39], v[8:9], v[16:17]
	;; [unrolled: 4-line block ×3, first 2 shown]
	v_add_f64 v[44:45], v[80:81], -v[44:45]
	v_add_f64 v[10:11], v[48:49], -v[10:11]
	;; [unrolled: 1-line block ×3, first 2 shown]
	v_add_f64 v[20:21], v[0:1], v[12:13]
	v_add_f64 v[0:1], v[12:13], -v[0:1]
	v_add_f64 v[6:7], v[18:19], -v[6:7]
	v_add_f64 v[18:19], v[50:51], v[2:3]
	v_add_f64 v[2:3], v[2:3], -v[50:51]
	v_add_f64 v[12:13], v[54:55], v[14:15]
	v_add_f64 v[48:49], v[56:57], v[52:53]
	v_add_f64 v[50:51], v[54:55], -v[14:15]
	v_add_f64 v[62:63], v[56:57], -v[52:53]
	v_add_f64 v[54:55], v[58:59], -v[54:55]
	v_add_f64 v[56:57], v[60:61], -v[56:57]
	v_add_f64 v[14:15], v[14:15], -v[58:59]
	v_add_f64 v[52:53], v[52:53], -v[60:61]
	v_add_f64 v[66:67], v[34:35], v[30:31]
	v_add_f64 v[74:75], v[34:35], -v[30:31]
	s_barrier
	v_add_f64 v[30:31], v[30:31], -v[42:43]
	v_add_f64 v[76:77], v[16:17], v[36:37]
	v_add_f64 v[78:79], v[46:47], v[38:39]
	;; [unrolled: 1-line block ×3, first 2 shown]
	v_add_f64 v[72:73], v[32:33], -v[44:45]
	v_add_f64 v[44:45], v[44:45], -v[40:41]
	;; [unrolled: 1-line block ×7, first 2 shown]
	v_add_f64 v[12:13], v[58:59], v[12:13]
	v_add_f64 v[48:49], v[60:61], v[48:49]
	v_add_f64 v[46:47], v[20:21], -v[46:47]
	v_add_f64 v[84:85], v[2:3], v[6:7]
	v_add_f64 v[86:87], v[0:1], v[4:5]
	v_add_f64 v[88:89], v[2:3], -v[6:7]
	v_add_f64 v[90:91], v[0:1], -v[4:5]
	;; [unrolled: 1-line block ×4, first 2 shown]
	v_mul_f64 v[4:5], v[54:55], s[4:5]
	v_mul_f64 v[6:7], v[56:57], s[4:5]
	v_add_f64 v[32:33], v[40:41], -v[32:33]
	v_add_f64 v[18:19], v[18:19], v[76:77]
	v_add_f64 v[20:21], v[20:21], v[78:79]
	v_add_f64 v[34:35], v[42:43], -v[34:35]
	v_add_f64 v[58:59], v[10:11], -v[2:3]
	;; [unrolled: 1-line block ×3, first 2 shown]
	v_add_f64 v[40:41], v[64:65], v[40:41]
	v_add_f64 v[42:43], v[66:67], v[42:43]
	v_mul_f64 v[14:15], v[14:15], s[12:13]
	v_mul_f64 v[52:53], v[52:53], s[12:13]
	;; [unrolled: 1-line block ×6, first 2 shown]
	v_add_f64 v[0:1], v[22:23], v[12:13]
	v_add_f64 v[2:3], v[24:25], v[48:49]
	v_mul_f64 v[36:37], v[36:37], s[12:13]
	v_mul_f64 v[38:39], v[38:39], s[12:13]
	v_mul_f64 v[76:77], v[88:89], s[14:15]
	v_mul_f64 v[78:79], v[90:91], s[14:15]
	v_fma_f64 v[88:89], v[50:51], s[16:17], -v[4:5]
	v_fma_f64 v[90:91], v[62:63], s[16:17], -v[6:7]
	v_add_f64 v[10:11], v[84:85], v[10:11]
	v_add_f64 v[4:5], v[26:27], v[18:19]
	;; [unrolled: 1-line block ×4, first 2 shown]
	v_mul_f64 v[84:85], v[92:93], s[6:7]
	v_mul_f64 v[86:87], v[94:95], s[6:7]
	;; [unrolled: 1-line block ×4, first 2 shown]
	v_fma_f64 v[54:55], v[54:55], s[4:5], v[14:15]
	v_fma_f64 v[56:57], v[56:57], s[4:5], v[52:53]
	v_fma_f64 v[14:15], v[50:51], s[0:1], -v[14:15]
	v_fma_f64 v[28:29], v[32:33], s[20:21], v[64:65]
	v_fma_f64 v[50:51], v[34:35], s[20:21], v[66:67]
	v_fma_f64 v[44:45], v[44:45], s[6:7], -v[64:65]
	v_fma_f64 v[30:31], v[30:31], s[6:7], -v[66:67]
	;; [unrolled: 1-line block ×4, first 2 shown]
	v_fma_f64 v[12:13], v[12:13], s[10:11], v[0:1]
	v_fma_f64 v[48:49], v[48:49], s[10:11], v[2:3]
	v_fma_f64 v[26:27], v[62:63], s[0:1], -v[52:53]
	v_fma_f64 v[16:17], v[16:17], s[4:5], v[36:37]
	v_fma_f64 v[46:47], v[46:47], s[4:5], v[38:39]
	;; [unrolled: 1-line block ×4, first 2 shown]
	v_fma_f64 v[64:65], v[92:93], s[6:7], -v[76:77]
	v_fma_f64 v[66:67], v[94:95], s[6:7], -v[78:79]
	v_fma_f64 v[18:19], v[18:19], s[10:11], v[4:5]
	v_fma_f64 v[20:21], v[20:21], s[10:11], v[6:7]
	v_fma_f64 v[58:59], v[58:59], s[22:23], -v[84:85]
	v_fma_f64 v[60:61], v[60:61], s[22:23], -v[86:87]
	;; [unrolled: 1-line block ×6, first 2 shown]
	v_fma_f64 v[72:73], v[40:41], s[18:19], v[28:29]
	v_fma_f64 v[28:29], v[42:43], s[18:19], v[50:51]
	;; [unrolled: 1-line block ×6, first 2 shown]
	v_add_f64 v[40:41], v[54:55], v[12:13]
	v_add_f64 v[42:43], v[56:57], v[48:49]
	;; [unrolled: 1-line block ×6, first 2 shown]
	v_fma_f64 v[56:57], v[10:11], s[18:19], v[52:53]
	v_fma_f64 v[52:53], v[8:9], s[18:19], v[62:63]
	;; [unrolled: 1-line block ×4, first 2 shown]
	v_add_f64 v[66:67], v[16:17], v[18:19]
	v_add_f64 v[74:75], v[46:47], v[20:21]
	v_fma_f64 v[58:59], v[10:11], s[18:19], v[58:59]
	v_fma_f64 v[60:61], v[8:9], s[18:19], v[60:61]
	v_add_f64 v[76:77], v[36:37], v[18:19]
	v_add_f64 v[78:79], v[38:39], v[20:21]
	;; [unrolled: 1-line block ×4, first 2 shown]
	v_add_co_u32 v82, s0, 0x800, v69
	v_add_co_ci_u32_e64 v83, s0, 0, v114, s0
	v_add_f64 v[8:9], v[28:29], v[40:41]
	v_add_f64 v[10:11], v[42:43], -v[72:73]
	v_add_f64 v[12:13], v[34:35], v[50:51]
	v_add_f64 v[14:15], v[26:27], -v[32:33]
	v_add_f64 v[16:17], v[54:55], -v[30:31]
	v_add_f64 v[18:19], v[44:45], v[48:49]
	v_add_f64 v[20:21], v[30:31], v[54:55]
	v_add_f64 v[22:23], v[48:49], -v[44:45]
	v_add_f64 v[24:25], v[50:51], -v[34:35]
	v_add_f64 v[26:27], v[32:33], v[26:27]
	v_add_f64 v[28:29], v[40:41], -v[28:29]
	v_add_f64 v[30:31], v[72:73], v[42:43]
	v_add_f64 v[32:33], v[52:53], v[66:67]
	v_add_f64 v[34:35], v[74:75], -v[56:57]
	v_add_f64 v[36:37], v[60:61], v[76:77]
	v_add_f64 v[38:39], v[78:79], -v[58:59]
	v_add_f64 v[40:41], v[46:47], -v[64:65]
	v_add_f64 v[42:43], v[62:63], v[80:81]
	v_add_f64 v[44:45], v[64:65], v[46:47]
	v_add_f64 v[46:47], v[80:81], -v[62:63]
	v_add_f64 v[48:49], v[76:77], -v[60:61]
	v_add_f64 v[50:51], v[58:59], v[78:79]
	v_add_f64 v[52:53], v[66:67], -v[52:53]
	v_add_f64 v[54:55], v[56:57], v[74:75]
	v_add_co_u32 v56, s0, 0x800, v115
	v_add_co_ci_u32_e64 v57, s0, 0, v116, s0
	v_add_co_u32 v58, s0, 0x1000, v115
	v_add_co_ci_u32_e64 v59, s0, 0, v116, s0
	buffer_gl0_inv
	ds_write_b128 v139, v[0:3]
	ds_write_b128 v139, v[4:7] offset:3808
	ds_write_b128 v139, v[8:11] offset:544
	ds_write_b128 v139, v[12:15] offset:1088
	ds_write_b128 v139, v[16:19] offset:1632
	ds_write_b128 v139, v[20:23] offset:2176
	ds_write_b128 v139, v[24:27] offset:2720
	ds_write_b128 v139, v[28:31] offset:3264
	ds_write_b128 v139, v[32:35] offset:4352
	ds_write_b128 v139, v[36:39] offset:4896
	ds_write_b128 v139, v[40:43] offset:5440
	ds_write_b128 v139, v[44:47] offset:5984
	ds_write_b128 v139, v[48:51] offset:6528
	ds_write_b128 v139, v[52:55] offset:7072
	v_add_co_u32 v24, s0, 0x1800, v115
	s_waitcnt lgkmcnt(0)
	s_barrier
	buffer_gl0_inv
	s_clause 0x2
	global_load_dwordx4 v[0:3], v[82:83], off offset:1488
	global_load_dwordx4 v[4:7], v[56:57], off offset:2032
	;; [unrolled: 1-line block ×3, first 2 shown]
	v_add_co_ci_u32_e64 v25, s0, 0, v116, s0
	s_clause 0x3
	global_load_dwordx4 v[12:15], v[58:59], off offset:1072
	global_load_dwordx4 v[16:19], v[58:59], off offset:1616
	;; [unrolled: 1-line block ×4, first 2 shown]
	ds_read_b128 v[28:31], v139 offset:3808
	ds_read_b128 v[32:35], v139 offset:4352
	;; [unrolled: 1-line block ×8, first 2 shown]
	ds_read_b128 v[60:63], v138
	ds_read_b128 v[64:67], v139 offset:544
	ds_read_b128 v[72:75], v139 offset:1088
	;; [unrolled: 1-line block ×5, first 2 shown]
	s_waitcnt vmcnt(0) lgkmcnt(0)
	s_barrier
	buffer_gl0_inv
	v_mul_f64 v[88:89], v[30:31], v[2:3]
	v_mul_f64 v[2:3], v[28:29], v[2:3]
	;; [unrolled: 1-line block ×14, first 2 shown]
	v_fma_f64 v[28:29], v[28:29], v[0:1], v[88:89]
	v_fma_f64 v[2:3], v[30:31], v[0:1], -v[2:3]
	v_fma_f64 v[30:31], v[32:33], v[4:5], v[90:91]
	v_fma_f64 v[6:7], v[34:35], v[4:5], -v[6:7]
	;; [unrolled: 2-line block ×7, first 2 shown]
	v_add_f64 v[0:1], v[60:61], -v[28:29]
	v_add_f64 v[2:3], v[62:63], -v[2:3]
	v_add_f64 v[4:5], v[64:65], -v[30:31]
	v_add_f64 v[6:7], v[66:67], -v[6:7]
	v_add_f64 v[8:9], v[72:73], -v[32:33]
	v_add_f64 v[10:11], v[74:75], -v[10:11]
	v_add_f64 v[12:13], v[76:77], -v[34:35]
	v_add_f64 v[14:15], v[78:79], -v[14:15]
	v_add_f64 v[16:17], v[80:81], -v[36:37]
	v_add_f64 v[18:19], v[82:83], -v[18:19]
	v_add_f64 v[20:21], v[84:85], -v[38:39]
	v_add_f64 v[22:23], v[86:87], -v[22:23]
	v_add_f64 v[24:25], v[56:57], -v[40:41]
	v_add_f64 v[26:27], v[58:59], -v[26:27]
	v_fma_f64 v[28:29], v[60:61], 2.0, -v[0:1]
	v_fma_f64 v[30:31], v[62:63], 2.0, -v[2:3]
	;; [unrolled: 1-line block ×14, first 2 shown]
	v_add_nc_u32_e32 v56, v140, v136
	ds_write_b128 v139, v[0:3] offset:3808
	ds_write_b128 v56, v[4:7] offset:4352
	;; [unrolled: 1-line block ×7, first 2 shown]
	ds_write_b128 v139, v[28:31]
	ds_write_b128 v139, v[32:35] offset:544
	ds_write_b128 v139, v[36:39] offset:1088
	;; [unrolled: 1-line block ×6, first 2 shown]
	s_waitcnt lgkmcnt(0)
	s_barrier
	buffer_gl0_inv
	s_and_saveexec_b32 s0, vcc_lo
	s_cbranch_execz .LBB0_20
; %bb.19:
	v_mov_b32_e32 v69, 0
	v_lshl_add_u32 v30, v68, 4, v137
	v_add_nc_u32_e32 v8, 34, v68
	v_add_co_u32 v31, vcc_lo, s2, v70
	v_mov_b32_e32 v9, v69
	ds_read_b128 v[0:3], v30
	ds_read_b128 v[4:7], v30 offset:544
	v_lshlrev_b64 v[10:11], 4, v[68:69]
	v_add_co_ci_u32_e32 v32, vcc_lo, s3, v71, vcc_lo
	v_lshlrev_b64 v[12:13], 4, v[8:9]
	v_add_nc_u32_e32 v18, 0x44, v68
	v_mov_b32_e32 v19, v69
	v_add_co_u32 v16, vcc_lo, v31, v10
	v_add_co_ci_u32_e32 v17, vcc_lo, v32, v11, vcc_lo
	ds_read_b128 v[8:11], v30 offset:1088
	v_add_co_u32 v20, vcc_lo, v31, v12
	v_add_co_ci_u32_e32 v21, vcc_lo, v32, v13, vcc_lo
	ds_read_b128 v[12:15], v30 offset:1632
	v_add_nc_u32_e32 v22, 0x66, v68
	v_mov_b32_e32 v23, v69
	v_lshlrev_b64 v[18:19], 4, v[18:19]
	s_waitcnt lgkmcnt(3)
	global_store_dwordx4 v[16:17], v[0:3], off
	s_waitcnt lgkmcnt(2)
	global_store_dwordx4 v[20:21], v[4:7], off
	v_add_nc_u32_e32 v4, 0x88, v68
	v_mov_b32_e32 v5, v69
	v_lshlrev_b64 v[0:1], 4, v[22:23]
	v_add_nc_u32_e32 v16, 0xcc, v68
	v_add_co_u32 v2, vcc_lo, v31, v18
	v_add_co_ci_u32_e32 v3, vcc_lo, v32, v19, vcc_lo
	v_add_co_u32 v0, vcc_lo, v31, v0
	v_add_co_ci_u32_e32 v1, vcc_lo, v32, v1, vcc_lo
	s_waitcnt lgkmcnt(1)
	global_store_dwordx4 v[2:3], v[8:11], off
	v_add_nc_u32_e32 v8, 0xaa, v68
	v_mov_b32_e32 v9, v69
	s_waitcnt lgkmcnt(0)
	global_store_dwordx4 v[0:1], v[12:15], off
	v_lshlrev_b64 v[12:13], 4, v[4:5]
	ds_read_b128 v[0:3], v30 offset:2176
	ds_read_b128 v[4:7], v30 offset:2720
	v_mov_b32_e32 v17, v69
	v_lshlrev_b64 v[14:15], 4, v[8:9]
	ds_read_b128 v[8:11], v30 offset:3264
	v_add_nc_u32_e32 v28, 0x110, v68
	v_add_co_u32 v20, vcc_lo, v31, v12
	v_add_co_ci_u32_e32 v21, vcc_lo, v32, v13, vcc_lo
	v_lshlrev_b64 v[12:13], 4, v[16:17]
	v_add_nc_u32_e32 v16, 0xee, v68
	v_add_co_u32 v22, vcc_lo, v31, v14
	v_add_co_ci_u32_e32 v23, vcc_lo, v32, v15, vcc_lo
	v_lshlrev_b64 v[26:27], 4, v[16:17]
	ds_read_b128 v[16:19], v30 offset:4352
	v_add_co_u32 v24, vcc_lo, v31, v12
	v_mov_b32_e32 v29, v69
	v_add_co_ci_u32_e32 v25, vcc_lo, v32, v13, vcc_lo
	ds_read_b128 v[12:15], v30 offset:3808
	s_waitcnt lgkmcnt(4)
	global_store_dwordx4 v[20:21], v[0:3], off
	s_waitcnt lgkmcnt(3)
	global_store_dwordx4 v[22:23], v[4:7], off
	;; [unrolled: 2-line block ×3, first 2 shown]
	v_lshlrev_b64 v[0:1], 4, v[28:29]
	v_add_co_u32 v2, vcc_lo, v31, v26
	v_add_co_ci_u32_e32 v3, vcc_lo, v32, v27, vcc_lo
	v_add_nc_u32_e32 v4, 0x132, v68
	v_mov_b32_e32 v5, v69
	v_add_co_u32 v6, vcc_lo, v31, v0
	v_add_co_ci_u32_e32 v7, vcc_lo, v32, v1, vcc_lo
	v_add_nc_u32_e32 v8, 0x154, v68
	v_mov_b32_e32 v9, v69
	v_lshlrev_b64 v[4:5], 4, v[4:5]
	s_waitcnt lgkmcnt(1)
	global_store_dwordx4 v[6:7], v[16:19], off
	v_add_nc_u32_e32 v24, 0x198, v68
	v_mov_b32_e32 v25, v69
	v_lshlrev_b64 v[6:7], 4, v[8:9]
	s_waitcnt lgkmcnt(0)
	global_store_dwordx4 v[2:3], v[12:15], off
	v_add_co_u32 v20, vcc_lo, v31, v4
	v_add_nc_u32_e32 v12, 0x176, v68
	v_mov_b32_e32 v13, v69
	v_add_co_ci_u32_e32 v21, vcc_lo, v32, v5, vcc_lo
	v_add_co_u32 v22, vcc_lo, v31, v6
	ds_read_b128 v[0:3], v30 offset:4896
	v_add_co_ci_u32_e32 v23, vcc_lo, v32, v7, vcc_lo
	ds_read_b128 v[4:7], v30 offset:5440
	ds_read_b128 v[8:11], v30 offset:5984
	v_lshlrev_b64 v[26:27], 4, v[12:13]
	ds_read_b128 v[12:15], v30 offset:6528
	ds_read_b128 v[16:19], v30 offset:7072
	v_add_nc_u32_e32 v68, 0x1ba, v68
	v_lshlrev_b64 v[24:25], 4, v[24:25]
	v_add_co_u32 v26, vcc_lo, v31, v26
	v_lshlrev_b64 v[28:29], 4, v[68:69]
	v_add_co_ci_u32_e32 v27, vcc_lo, v32, v27, vcc_lo
	v_add_co_u32 v24, vcc_lo, v31, v24
	v_add_co_ci_u32_e32 v25, vcc_lo, v32, v25, vcc_lo
	v_add_co_u32 v28, vcc_lo, v31, v28
	v_add_co_ci_u32_e32 v29, vcc_lo, v32, v29, vcc_lo
	s_waitcnt lgkmcnt(4)
	global_store_dwordx4 v[20:21], v[0:3], off
	s_waitcnt lgkmcnt(3)
	global_store_dwordx4 v[22:23], v[4:7], off
	;; [unrolled: 2-line block ×5, first 2 shown]
.LBB0_20:
	s_endpgm
	.section	.rodata,"a",@progbits
	.p2align	6, 0x0
	.amdhsa_kernel fft_rtc_back_len476_factors_17_2_7_2_wgs_102_tpt_34_halfLds_dp_ip_CI_unitstride_sbrr_C2R_dirReg
		.amdhsa_group_segment_fixed_size 0
		.amdhsa_private_segment_fixed_size 0
		.amdhsa_kernarg_size 88
		.amdhsa_user_sgpr_count 6
		.amdhsa_user_sgpr_private_segment_buffer 1
		.amdhsa_user_sgpr_dispatch_ptr 0
		.amdhsa_user_sgpr_queue_ptr 0
		.amdhsa_user_sgpr_kernarg_segment_ptr 1
		.amdhsa_user_sgpr_dispatch_id 0
		.amdhsa_user_sgpr_flat_scratch_init 0
		.amdhsa_user_sgpr_private_segment_size 0
		.amdhsa_wavefront_size32 1
		.amdhsa_uses_dynamic_stack 0
		.amdhsa_system_sgpr_private_segment_wavefront_offset 0
		.amdhsa_system_sgpr_workgroup_id_x 1
		.amdhsa_system_sgpr_workgroup_id_y 0
		.amdhsa_system_sgpr_workgroup_id_z 0
		.amdhsa_system_sgpr_workgroup_info 0
		.amdhsa_system_vgpr_workitem_id 0
		.amdhsa_next_free_vgpr 171
		.amdhsa_next_free_sgpr 52
		.amdhsa_reserve_vcc 1
		.amdhsa_reserve_flat_scratch 0
		.amdhsa_float_round_mode_32 0
		.amdhsa_float_round_mode_16_64 0
		.amdhsa_float_denorm_mode_32 3
		.amdhsa_float_denorm_mode_16_64 3
		.amdhsa_dx10_clamp 1
		.amdhsa_ieee_mode 1
		.amdhsa_fp16_overflow 0
		.amdhsa_workgroup_processor_mode 1
		.amdhsa_memory_ordered 1
		.amdhsa_forward_progress 0
		.amdhsa_shared_vgpr_count 0
		.amdhsa_exception_fp_ieee_invalid_op 0
		.amdhsa_exception_fp_denorm_src 0
		.amdhsa_exception_fp_ieee_div_zero 0
		.amdhsa_exception_fp_ieee_overflow 0
		.amdhsa_exception_fp_ieee_underflow 0
		.amdhsa_exception_fp_ieee_inexact 0
		.amdhsa_exception_int_div_zero 0
	.end_amdhsa_kernel
	.text
.Lfunc_end0:
	.size	fft_rtc_back_len476_factors_17_2_7_2_wgs_102_tpt_34_halfLds_dp_ip_CI_unitstride_sbrr_C2R_dirReg, .Lfunc_end0-fft_rtc_back_len476_factors_17_2_7_2_wgs_102_tpt_34_halfLds_dp_ip_CI_unitstride_sbrr_C2R_dirReg
                                        ; -- End function
	.section	.AMDGPU.csdata,"",@progbits
; Kernel info:
; codeLenInByte = 14488
; NumSgprs: 54
; NumVgprs: 171
; ScratchSize: 0
; MemoryBound: 0
; FloatMode: 240
; IeeeMode: 1
; LDSByteSize: 0 bytes/workgroup (compile time only)
; SGPRBlocks: 6
; VGPRBlocks: 21
; NumSGPRsForWavesPerEU: 54
; NumVGPRsForWavesPerEU: 171
; Occupancy: 5
; WaveLimiterHint : 1
; COMPUTE_PGM_RSRC2:SCRATCH_EN: 0
; COMPUTE_PGM_RSRC2:USER_SGPR: 6
; COMPUTE_PGM_RSRC2:TRAP_HANDLER: 0
; COMPUTE_PGM_RSRC2:TGID_X_EN: 1
; COMPUTE_PGM_RSRC2:TGID_Y_EN: 0
; COMPUTE_PGM_RSRC2:TGID_Z_EN: 0
; COMPUTE_PGM_RSRC2:TIDIG_COMP_CNT: 0
	.text
	.p2alignl 6, 3214868480
	.fill 48, 4, 3214868480
	.type	__hip_cuid_e6e1668715755883,@object ; @__hip_cuid_e6e1668715755883
	.section	.bss,"aw",@nobits
	.globl	__hip_cuid_e6e1668715755883
__hip_cuid_e6e1668715755883:
	.byte	0                               ; 0x0
	.size	__hip_cuid_e6e1668715755883, 1

	.ident	"AMD clang version 19.0.0git (https://github.com/RadeonOpenCompute/llvm-project roc-6.4.0 25133 c7fe45cf4b819c5991fe208aaa96edf142730f1d)"
	.section	".note.GNU-stack","",@progbits
	.addrsig
	.addrsig_sym __hip_cuid_e6e1668715755883
	.amdgpu_metadata
---
amdhsa.kernels:
  - .args:
      - .actual_access:  read_only
        .address_space:  global
        .offset:         0
        .size:           8
        .value_kind:     global_buffer
      - .offset:         8
        .size:           8
        .value_kind:     by_value
      - .actual_access:  read_only
        .address_space:  global
        .offset:         16
        .size:           8
        .value_kind:     global_buffer
      - .actual_access:  read_only
        .address_space:  global
        .offset:         24
        .size:           8
        .value_kind:     global_buffer
      - .offset:         32
        .size:           8
        .value_kind:     by_value
      - .actual_access:  read_only
        .address_space:  global
        .offset:         40
        .size:           8
        .value_kind:     global_buffer
      - .actual_access:  read_only
        .address_space:  global
        .offset:         48
        .size:           8
        .value_kind:     global_buffer
      - .offset:         56
        .size:           4
        .value_kind:     by_value
      - .actual_access:  read_only
        .address_space:  global
        .offset:         64
        .size:           8
        .value_kind:     global_buffer
      - .actual_access:  read_only
        .address_space:  global
        .offset:         72
        .size:           8
        .value_kind:     global_buffer
      - .address_space:  global
        .offset:         80
        .size:           8
        .value_kind:     global_buffer
    .group_segment_fixed_size: 0
    .kernarg_segment_align: 8
    .kernarg_segment_size: 88
    .language:       OpenCL C
    .language_version:
      - 2
      - 0
    .max_flat_workgroup_size: 102
    .name:           fft_rtc_back_len476_factors_17_2_7_2_wgs_102_tpt_34_halfLds_dp_ip_CI_unitstride_sbrr_C2R_dirReg
    .private_segment_fixed_size: 0
    .sgpr_count:     54
    .sgpr_spill_count: 0
    .symbol:         fft_rtc_back_len476_factors_17_2_7_2_wgs_102_tpt_34_halfLds_dp_ip_CI_unitstride_sbrr_C2R_dirReg.kd
    .uniform_work_group_size: 1
    .uses_dynamic_stack: false
    .vgpr_count:     171
    .vgpr_spill_count: 0
    .wavefront_size: 32
    .workgroup_processor_mode: 1
amdhsa.target:   amdgcn-amd-amdhsa--gfx1030
amdhsa.version:
  - 1
  - 2
...

	.end_amdgpu_metadata
